;; amdgpu-corpus repo=ROCm/rocFFT kind=compiled arch=gfx906 opt=O3
	.text
	.amdgcn_target "amdgcn-amd-amdhsa--gfx906"
	.amdhsa_code_object_version 6
	.protected	bluestein_single_back_len2025_dim1_half_op_CI_CI ; -- Begin function bluestein_single_back_len2025_dim1_half_op_CI_CI
	.globl	bluestein_single_back_len2025_dim1_half_op_CI_CI
	.p2align	8
	.type	bluestein_single_back_len2025_dim1_half_op_CI_CI,@function
bluestein_single_back_len2025_dim1_half_op_CI_CI: ; @bluestein_single_back_len2025_dim1_half_op_CI_CI
; %bb.0:
	s_load_dwordx4 s[16:19], s[4:5], 0x28
	v_mul_u32_u24_e32 v1, 0x1e6, v0
	v_add_u32_sdwa v24, s6, v1 dst_sel:DWORD dst_unused:UNUSED_PAD src0_sel:DWORD src1_sel:WORD_1
	v_mov_b32_e32 v25, 0
	s_waitcnt lgkmcnt(0)
	v_cmp_gt_u64_e32 vcc, s[16:17], v[24:25]
	s_and_saveexec_b64 s[0:1], vcc
	s_cbranch_execz .LBB0_2
; %bb.1:
	s_load_dwordx4 s[8:11], s[4:5], 0x18
	s_load_dwordx4 s[0:3], s[4:5], 0x0
	s_movk_i32 s6, 0x87
	v_mul_lo_u16_sdwa v1, v1, s6 dst_sel:DWORD dst_unused:UNUSED_PAD src0_sel:WORD_1 src1_sel:DWORD
	v_sub_u16_e32 v75, v0, v1
	s_waitcnt lgkmcnt(0)
	s_load_dwordx4 s[12:15], s[8:9], 0x0
	v_lshlrev_b32_e32 v57, 2, v75
	global_load_dword v76, v57, s[0:1]
	v_add_u32_e32 v77, 0xc00, v57
	v_add_u32_e32 v81, 0x1600, v57
	s_waitcnt lgkmcnt(0)
	v_mad_u64_u32 v[0:1], s[8:9], s14, v24, 0
	v_mad_u64_u32 v[2:3], s[8:9], s12, v75, 0
	s_mul_i32 s7, s13, 0xa8c
	s_mul_hi_u32 s14, s12, 0xffffed04
	v_mad_u64_u32 v[4:5], s[8:9], s15, v24, v[1:2]
	v_add_u32_e32 v73, 0x400, v57
	v_add_u32_e32 v66, 0x1000, v57
	v_mad_u64_u32 v[5:6], s[8:9], s13, v75, v[3:4]
	v_mov_b32_e32 v1, v4
	v_lshlrev_b64 v[0:1], 2, v[0:1]
	v_mov_b32_e32 v6, s19
	v_mov_b32_e32 v3, v5
	v_add_co_u32_e32 v4, vcc, s18, v0
	v_addc_co_u32_e32 v5, vcc, v6, v1, vcc
	v_lshlrev_b64 v[0:1], 2, v[2:3]
	s_mul_hi_u32 s8, s12, 0xa8c
	v_add_co_u32_e32 v0, vcc, v4, v0
	v_addc_co_u32_e32 v1, vcc, v5, v1, vcc
	global_load_dword v2, v[0:1], off
	s_add_i32 s7, s8, s7
	s_mul_i32 s8, s12, 0xa8c
	v_mov_b32_e32 v3, s7
	v_add_co_u32_e32 v0, vcc, s8, v0
	v_addc_co_u32_e32 v1, vcc, v1, v3, vcc
	global_load_dword v74, v57, s[0:1] offset:2700
	global_load_dword v4, v[0:1], off
	v_add_co_u32_e32 v0, vcc, s8, v0
	v_addc_co_u32_e32 v1, vcc, v1, v3, vcc
	v_mov_b32_e32 v5, s1
	v_add_co_u32_e32 v82, vcc, s0, v57
	v_addc_co_u32_e32 v83, vcc, 0, v5, vcc
	s_movk_i32 s9, 0x1000
	global_load_dword v3, v[0:1], off
	v_add_co_u32_e32 v25, vcc, s9, v82
	v_addc_co_u32_e32 v26, vcc, 0, v83, vcc
	global_load_dword v72, v[25:26], off offset:1304
	global_load_dword v68, v57, s[0:1] offset:3240
	global_load_dword v65, v57, s[0:1] offset:3780
	s_mulk_i32 s13, 0xed04
	s_mul_i32 s9, s12, 0xffffed04
	s_sub_i32 s12, s14, s12
	s_add_i32 s12, s12, s13
	v_mov_b32_e32 v5, s12
	v_add_co_u32_e32 v0, vcc, s9, v0
	v_addc_co_u32_e32 v1, vcc, v1, v5, vcc
	global_load_dword v5, v[0:1], off
	global_load_dword v71, v57, s[0:1] offset:540
	global_load_dword v67, v57, s[0:1] offset:1080
	;; [unrolled: 1-line block ×4, first 2 shown]
	global_load_dword v69, v[25:26], off offset:1844
	global_load_dword v64, v[25:26], off offset:2384
	;; [unrolled: 1-line block ×5, first 2 shown]
	v_mov_b32_e32 v6, s7
	v_add_co_u32_e32 v0, vcc, s8, v0
	v_addc_co_u32_e32 v1, vcc, v1, v6, vcc
	global_load_dword v6, v[0:1], off
	v_mov_b32_e32 v7, s7
	v_add_co_u32_e32 v0, vcc, s8, v0
	v_addc_co_u32_e32 v1, vcc, v1, v7, vcc
	global_load_dword v7, v[0:1], off
	;; [unrolled: 4-line block ×4, first 2 shown]
	v_add_co_u32_e32 v0, vcc, s8, v0
	v_mov_b32_e32 v15, s12
	v_mov_b32_e32 v16, s7
	global_load_dword v63, v[25:26], off offset:224
	v_mov_b32_e32 v17, s12
	v_mov_b32_e32 v19, s7
	v_add_u32_e32 v80, 0x1a00, v57
	v_add_u32_e32 v78, 0x1400, v57
	;; [unrolled: 1-line block ×3, first 2 shown]
	s_movk_i32 s0, 0x3aee
	s_mov_b32 s15, 0xffff
	v_add_u32_e32 v70, 0x1800, v57
	s_movk_i32 s1, 0x10e
	s_mov_b32 s16, 0xe38f
	s_mov_b32 s13, 0xbb9c
	s_mov_b32 s14, 0xb8b4
	s_movk_i32 s12, 0x34f2
	s_movk_i32 s18, 0x5a
	s_load_dwordx2 s[4:5], s[4:5], 0x38
	s_waitcnt vmcnt(21)
	v_lshrrev_b32_e32 v9, 16, v2
	v_mul_f16_sdwa v10, v76, v2 dst_sel:DWORD dst_unused:UNUSED_PAD src0_sel:WORD_1 src1_sel:DWORD
	v_mul_f16_sdwa v11, v76, v9 dst_sel:DWORD dst_unused:UNUSED_PAD src0_sel:WORD_1 src1_sel:DWORD
	v_fma_f16 v9, v76, v9, -v10
	v_fma_f16 v2, v76, v2, v11
	v_pack_b32_f16 v2, v2, v9
	v_mov_b32_e32 v9, s7
	v_addc_co_u32_e32 v1, vcc, v1, v9, vcc
	global_load_dword v9, v[0:1], off
	v_add_co_u32_e32 v0, vcc, s9, v0
	v_addc_co_u32_e32 v1, vcc, v1, v15, vcc
	s_waitcnt vmcnt(20)
	v_lshrrev_b32_e32 v10, 16, v4
	v_mul_f16_sdwa v12, v74, v4 dst_sel:DWORD dst_unused:UNUSED_PAD src0_sel:WORD_1 src1_sel:DWORD
	global_load_dword v15, v[0:1], off
	v_mul_f16_sdwa v11, v74, v10 dst_sel:DWORD dst_unused:UNUSED_PAD src0_sel:WORD_1 src1_sel:DWORD
	v_fma_f16 v10, v74, v10, -v12
	s_waitcnt vmcnt(20)
	v_lshrrev_b32_e32 v12, 16, v3
	v_fma_f16 v4, v74, v4, v11
	v_add_co_u32_e32 v0, vcc, s8, v0
	s_waitcnt vmcnt(19)
	v_mul_f16_sdwa v14, v72, v3 dst_sel:DWORD dst_unused:UNUSED_PAD src0_sel:WORD_1 src1_sel:DWORD
	v_mul_f16_sdwa v11, v72, v12 dst_sel:DWORD dst_unused:UNUSED_PAD src0_sel:WORD_1 src1_sel:DWORD
	v_fma_f16 v12, v72, v12, -v14
	v_mov_b32_e32 v14, s7
	v_addc_co_u32_e32 v1, vcc, v1, v14, vcc
	global_load_dword v14, v[0:1], off
	v_add_co_u32_e32 v0, vcc, s8, v0
	v_addc_co_u32_e32 v1, vcc, v1, v16, vcc
	global_load_dword v16, v[0:1], off
	v_add_co_u32_e32 v0, vcc, s9, v0
	;; [unrolled: 3-line block ×3, first 2 shown]
	v_addc_co_u32_e32 v1, vcc, v1, v19, vcc
	global_load_dword v19, v[0:1], off
	v_pack_b32_f16 v4, v4, v10
	v_mov_b32_e32 v10, s7
	v_add_co_u32_e32 v0, vcc, s8, v0
	v_addc_co_u32_e32 v1, vcc, v1, v10, vcc
	global_load_dword v0, v[0:1], off
	v_fma_f16 v3, v72, v3, v11
	s_waitcnt vmcnt(21)
	v_lshrrev_b32_e32 v18, 16, v5
	v_pack_b32_f16 v3, v3, v12
	s_waitcnt vmcnt(20)
	v_mul_f16_sdwa v1, v71, v18 dst_sel:DWORD dst_unused:UNUSED_PAD src0_sel:WORD_1 src1_sel:DWORD
	ds_write_b32 v57, v3 offset:5400
	v_mul_f16_sdwa v3, v71, v5 dst_sel:DWORD dst_unused:UNUSED_PAD src0_sel:WORD_1 src1_sel:DWORD
	v_fma_f16 v1, v71, v5, v1
	v_fma_f16 v3, v71, v18, -v3
	v_pack_b32_f16 v1, v1, v3
	ds_write_b32 v57, v4 offset:2700
	ds_write2_b32 v57, v2, v1 offset1:135
	s_waitcnt vmcnt(11)
	v_lshrrev_b32_e32 v1, 16, v6
	v_mul_f16_sdwa v2, v68, v1 dst_sel:DWORD dst_unused:UNUSED_PAD src0_sel:WORD_1 src1_sel:DWORD
	v_mul_f16_sdwa v3, v68, v6 dst_sel:DWORD dst_unused:UNUSED_PAD src0_sel:WORD_1 src1_sel:DWORD
	v_fma_f16 v2, v68, v6, v2
	v_fma_f16 v1, v68, v1, -v3
	v_pack_b32_f16 v1, v2, v1
	s_waitcnt vmcnt(10)
	v_lshrrev_b32_e32 v2, 16, v7
	v_mul_f16_sdwa v3, v69, v2 dst_sel:DWORD dst_unused:UNUSED_PAD src0_sel:WORD_1 src1_sel:DWORD
	v_mul_f16_sdwa v4, v69, v7 dst_sel:DWORD dst_unused:UNUSED_PAD src0_sel:WORD_1 src1_sel:DWORD
	v_fma_f16 v3, v69, v7, v3
	v_fma_f16 v2, v69, v2, -v4
	v_pack_b32_f16 v2, v3, v2
	;; [unrolled: 7-line block ×4, first 2 shown]
	ds_write2_b32 v77, v1, v4 offset0:42 offset1:177
	s_load_dwordx4 s[8:11], s[10:11], 0x0
	s_waitcnt vmcnt(6)
	v_lshrrev_b32_e32 v1, 16, v9
	v_mul_f16_sdwa v4, v64, v1 dst_sel:DWORD dst_unused:UNUSED_PAD src0_sel:WORD_1 src1_sel:DWORD
	v_mul_f16_sdwa v5, v64, v9 dst_sel:DWORD dst_unused:UNUSED_PAD src0_sel:WORD_1 src1_sel:DWORD
	v_fma_f16 v4, v64, v9, v4
	v_fma_f16 v1, v64, v1, -v5
	v_pack_b32_f16 v1, v4, v1
	ds_write2_b32 v81, v2, v1 offset0:77 offset1:212
	s_waitcnt vmcnt(5)
	v_lshrrev_b32_e32 v1, 16, v15
	v_mul_f16_sdwa v2, v62, v1 dst_sel:DWORD dst_unused:UNUSED_PAD src0_sel:WORD_1 src1_sel:DWORD
	v_mul_f16_sdwa v4, v62, v15 dst_sel:DWORD dst_unused:UNUSED_PAD src0_sel:WORD_1 src1_sel:DWORD
	v_fma_f16 v2, v62, v15, v2
	v_fma_f16 v1, v62, v1, -v4
	v_pack_b32_f16 v1, v2, v1
	ds_write2_b32 v73, v3, v1 offset0:14 offset1:149
	v_add_co_u32_e32 v41, vcc, s6, v75
	v_addc_co_u32_e64 v39, s[6:7], 0, 0, vcc
	v_add_co_u32_e32 v43, vcc, s1, v75
	s_waitcnt vmcnt(4)
	v_lshrrev_b32_e32 v1, 16, v14
	v_mul_f16_sdwa v2, v63, v1 dst_sel:DWORD dst_unused:UNUSED_PAD src0_sel:WORD_1 src1_sel:DWORD
	v_mul_f16_sdwa v3, v63, v14 dst_sel:DWORD dst_unused:UNUSED_PAD src0_sel:WORD_1 src1_sel:DWORD
	v_fma_f16 v2, v63, v14, v2
	v_fma_f16 v1, v63, v1, -v3
	v_pack_b32_f16 v1, v2, v1
	s_waitcnt vmcnt(3)
	v_lshrrev_b32_e32 v2, 16, v16
	v_mul_f16_sdwa v3, v61, v2 dst_sel:DWORD dst_unused:UNUSED_PAD src0_sel:WORD_1 src1_sel:DWORD
	v_mul_f16_sdwa v4, v61, v16 dst_sel:DWORD dst_unused:UNUSED_PAD src0_sel:WORD_1 src1_sel:DWORD
	v_fma_f16 v3, v61, v16, v3
	v_fma_f16 v2, v61, v2, -v4
	v_pack_b32_f16 v2, v3, v2
	;; [unrolled: 7-line block ×3, first 2 shown]
	ds_write_b32 v57, v3 offset:2160
	s_waitcnt vmcnt(1)
	v_lshrrev_b32_e32 v3, 16, v19
	v_mul_f16_sdwa v4, v59, v3 dst_sel:DWORD dst_unused:UNUSED_PAD src0_sel:WORD_1 src1_sel:DWORD
	v_mul_f16_sdwa v5, v59, v19 dst_sel:DWORD dst_unused:UNUSED_PAD src0_sel:WORD_1 src1_sel:DWORD
	v_fma_f16 v4, v59, v19, v4
	v_fma_f16 v3, v59, v3, -v5
	v_pack_b32_f16 v3, v4, v3
	ds_write2_b32 v66, v1, v3 offset0:56 offset1:191
	s_waitcnt vmcnt(0)
	v_lshrrev_b32_e32 v1, 16, v0
	v_mul_f16_sdwa v3, v58, v1 dst_sel:DWORD dst_unused:UNUSED_PAD src0_sel:WORD_1 src1_sel:DWORD
	v_fma_f16 v3, v58, v0, v3
	v_mul_f16_sdwa v0, v58, v0 dst_sel:DWORD dst_unused:UNUSED_PAD src0_sel:WORD_1 src1_sel:DWORD
	v_fma_f16 v0, v58, v1, -v0
	v_pack_b32_f16 v0, v3, v0
	ds_write2_b32 v80, v2, v0 offset0:91 offset1:226
	s_waitcnt lgkmcnt(0)
	s_barrier
	ds_read2_b32 v[0:1], v78 offset0:70 offset1:205
	ds_read2_b32 v[2:3], v79 offset0:28 offset1:163
	ds_read2_b32 v[4:5], v57 offset1:135
	s_movk_i32 s1, 0x195
	v_add_co_u32_e32 v45, vcc, s1, v75
	s_waitcnt lgkmcnt(1)
	v_pk_add_f16 v6, v3, v0
	v_pk_add_f16 v7, v3, v0 neg_lo:[0,1] neg_hi:[0,1]
	s_waitcnt lgkmcnt(0)
	v_pk_fma_f16 v6, v6, 0.5, v4 op_sel_hi:[1,0,1] neg_lo:[1,0,0] neg_hi:[1,0,0]
	v_pk_mul_f16 v7, v7, s0 op_sel_hi:[1,0]
	v_pk_add_f16 v12, v6, v7 op_sel:[0,1] op_sel_hi:[1,0]
	v_pk_add_f16 v13, v6, v7 op_sel:[0,1] op_sel_hi:[1,0] neg_lo:[0,1] neg_hi:[0,1]
	v_mul_lo_u16_e32 v6, 3, v75
	v_pk_add_f16 v3, v4, v3
	v_lshlrev_b32_e32 v84, 2, v6
	v_pk_add_f16 v0, v3, v0
	ds_read_b32 v14, v57 offset:7560
	ds_read2_b32 v[3:4], v77 offset0:42 offset1:177
	ds_read2_b32 v[6:7], v73 offset0:14 offset1:149
	;; [unrolled: 1-line block ×4, first 2 shown]
	v_bfi_b32 v15, s15, v12, v13
	s_waitcnt lgkmcnt(0)
	s_barrier
	ds_write2_b32 v84, v0, v15 offset1:1
	v_pk_add_f16 v0, v3, v1
	v_pk_fma_f16 v0, v0, 0.5, v5 op_sel_hi:[1,0,1] neg_lo:[1,0,0] neg_hi:[1,0,0]
	v_pk_add_f16 v5, v5, v3
	v_pk_add_f16 v5, v5, v1
	v_pk_add_f16 v1, v3, v1 neg_lo:[0,1] neg_hi:[0,1]
	v_pk_mul_f16 v1, v1, s0 op_sel_hi:[1,0]
	v_pk_add_f16 v3, v0, v1 op_sel:[0,1] op_sel_hi:[1,0]
	v_pk_add_f16 v0, v0, v1 op_sel:[0,1] op_sel_hi:[1,0] neg_lo:[0,1] neg_hi:[0,1]
	v_bfi_b32 v1, s15, v13, v12
	ds_write_b32 v84, v1 offset:8
	v_mul_u32_u24_e32 v1, 3, v41
	v_lshlrev_b32_e32 v85, 2, v1
	v_bfi_b32 v1, s15, v3, v0
	ds_write2_b32 v85, v5, v1 offset1:1
	v_bfi_b32 v0, s15, v0, v3
	v_pk_add_f16 v1, v6, v4
	v_pk_add_f16 v3, v4, v8
	v_pk_add_f16 v4, v4, v8 neg_lo:[0,1] neg_hi:[0,1]
	v_pk_fma_f16 v3, v3, 0.5, v6 op_sel_hi:[1,0,1] neg_lo:[1,0,0] neg_hi:[1,0,0]
	v_pk_mul_f16 v4, v4, s0 op_sel_hi:[1,0]
	v_pk_add_f16 v5, v3, v4 op_sel:[0,1] op_sel_hi:[1,0]
	v_pk_add_f16 v3, v3, v4 op_sel:[0,1] op_sel_hi:[1,0] neg_lo:[0,1] neg_hi:[0,1]
	ds_write_b32 v85, v0 offset:8
	v_mul_u32_u24_e32 v0, 3, v43
	v_lshlrev_b32_e32 v86, 2, v0
	v_pk_add_f16 v0, v1, v8
	v_bfi_b32 v1, s15, v5, v3
	ds_write2_b32 v86, v0, v1 offset1:1
	v_pk_add_f16 v1, v10, v9
	v_pk_add_f16 v4, v10, v9 neg_lo:[0,1] neg_hi:[0,1]
	v_bfi_b32 v0, s15, v3, v5
	v_pk_fma_f16 v1, v1, 0.5, v7 op_sel_hi:[1,0,1] neg_lo:[1,0,0] neg_hi:[1,0,0]
	v_pk_mul_f16 v4, v4, s0 op_sel_hi:[1,0]
	v_pk_add_f16 v3, v7, v10
	v_pk_add_f16 v5, v1, v4 op_sel:[0,1] op_sel_hi:[1,0]
	v_pk_add_f16 v1, v1, v4 op_sel:[0,1] op_sel_hi:[1,0] neg_lo:[0,1] neg_hi:[0,1]
	ds_write_b32 v86, v0 offset:8
	v_mul_u32_u24_e32 v0, 3, v45
	v_pk_add_f16 v3, v3, v9
	v_lshlrev_b32_e32 v87, 2, v0
	v_bfi_b32 v0, s15, v5, v1
	ds_write2_b32 v87, v3, v0 offset1:1
	v_bfi_b32 v0, s15, v1, v5
	v_pk_add_f16 v1, v11, v14
	v_pk_add_f16 v3, v11, v14 neg_lo:[0,1] neg_hi:[0,1]
	s_movk_i32 s1, 0x21c
	v_pk_fma_f16 v1, v1, 0.5, v2 op_sel_hi:[1,0,1] neg_lo:[1,0,0] neg_hi:[1,0,0]
	ds_write_b32 v87, v0 offset:8
	v_pk_mul_f16 v0, v3, s0 op_sel_hi:[1,0]
	v_add_co_u32_e32 v55, vcc, s1, v75
	v_pk_add_f16 v3, v1, v0 op_sel:[0,1] op_sel_hi:[1,0]
	v_pk_add_f16 v0, v1, v0 op_sel:[0,1] op_sel_hi:[1,0] neg_lo:[0,1] neg_hi:[0,1]
	v_mul_u32_u24_e32 v1, 3, v55
	v_lshlrev_b32_e32 v88, 2, v1
	v_bfi_b32 v1, s15, v3, v0
	v_bfi_b32 v0, s15, v0, v3
	s_movk_i32 s1, 0xab
	ds_write_b32 v88, v0 offset:8
	v_mul_lo_u16_sdwa v0, v75, s1 dst_sel:DWORD dst_unused:UNUSED_PAD src0_sel:BYTE_0 src1_sel:DWORD
	v_lshrrev_b16_e32 v6, 9, v0
	v_mul_lo_u16_e32 v0, 3, v6
	v_sub_u16_e32 v0, v75, v0
	v_pk_add_f16 v2, v2, v11
	v_and_b32_e32 v7, 0xff, v0
	v_pk_add_f16 v2, v2, v14
	v_lshlrev_b32_e32 v0, 3, v7
	ds_write2_b32 v88, v2, v1 offset1:1
	s_waitcnt lgkmcnt(0)
	s_barrier
	global_load_dwordx2 v[27:28], v0, s[2:3]
	s_mov_b32 s6, 0xaaab
	v_mul_u32_u24_sdwa v0, v41, s6 dst_sel:DWORD dst_unused:UNUSED_PAD src0_sel:WORD_0 src1_sel:DWORD
	v_lshrrev_b32_e32 v12, 17, v0
	v_mul_lo_u16_e32 v0, 3, v12
	v_sub_u16_e32 v13, v41, v0
	v_lshlrev_b16_e32 v0, 1, v13
	v_lshlrev_b32_e32 v0, 2, v0
	global_load_dwordx2 v[29:30], v0, s[2:3]
	v_mul_u32_u24_sdwa v0, v43, s6 dst_sel:DWORD dst_unused:UNUSED_PAD src0_sel:WORD_0 src1_sel:DWORD
	v_lshrrev_b32_e32 v14, 17, v0
	v_mul_lo_u16_e32 v0, 3, v14
	v_sub_u16_e32 v15, v43, v0
	v_lshlrev_b16_e32 v0, 1, v15
	v_lshlrev_b32_e32 v2, 2, v0
	v_mul_u32_u24_sdwa v0, v45, s6 dst_sel:DWORD dst_unused:UNUSED_PAD src0_sel:WORD_0 src1_sel:DWORD
	v_lshrrev_b32_e32 v16, 17, v0
	v_mul_lo_u16_e32 v3, 3, v16
	v_sub_u16_e32 v17, v45, v3
	v_lshlrev_b16_e32 v3, 1, v17
	ds_read2_b32 v[0:1], v79 offset0:28 offset1:163
	v_lshlrev_b32_e32 v4, 2, v3
	global_load_dwordx2 v[31:32], v2, s[2:3]
	global_load_dwordx2 v[33:34], v4, s[2:3]
	ds_read2_b32 v[2:3], v78 offset0:70 offset1:205
	ds_read2_b32 v[4:5], v57 offset1:135
	s_waitcnt lgkmcnt(2)
	v_lshrrev_b32_e32 v8, 16, v1
	s_mov_b32 s1, 0xbaee
	ds_read_b32 v38, v57 offset:7560
	s_waitcnt lgkmcnt(2)
	v_lshrrev_b32_e32 v10, 16, v2
	s_waitcnt lgkmcnt(1)
	v_lshrrev_b32_e32 v18, 16, v4
	s_movk_i32 s7, 0x38b4
	s_waitcnt vmcnt(3)
	v_mul_f16_sdwa v9, v1, v27 dst_sel:DWORD dst_unused:UNUSED_PAD src0_sel:DWORD src1_sel:WORD_1
	v_fma_f16 v9, v8, v27, v9
	v_mul_f16_sdwa v11, v2, v28 dst_sel:DWORD dst_unused:UNUSED_PAD src0_sel:DWORD src1_sel:WORD_1
	v_mul_f16_sdwa v8, v8, v27 dst_sel:DWORD dst_unused:UNUSED_PAD src0_sel:DWORD src1_sel:WORD_1
	v_fma_f16 v11, v10, v28, v11
	v_fma_f16 v1, v1, v27, -v8
	v_mul_f16_sdwa v8, v10, v28 dst_sel:DWORD dst_unused:UNUSED_PAD src0_sel:DWORD src1_sel:WORD_1
	v_add_f16_e32 v19, v18, v9
	v_sub_f16_e32 v20, v9, v11
	v_add_f16_e32 v9, v9, v11
	v_fma_f16 v2, v2, v28, -v8
	v_fma_f16 v18, v9, -0.5, v18
	v_add_f16_e32 v9, v1, v2
	v_add_f16_e32 v8, v4, v1
	v_sub_f16_e32 v21, v1, v2
	v_mul_u32_u24_e32 v1, 9, v6
	v_fma_f16 v4, v9, -0.5, v4
	v_add_f16_e32 v8, v8, v2
	v_add_lshl_u32 v89, v1, v7, 2
	v_fma_f16 v1, v20, s0, v4
	v_fma_f16 v2, v21, s1, v18
	v_pack_b32_f16 v22, v1, v2
	v_mul_u32_u24_sdwa v1, v55, s6 dst_sel:DWORD dst_unused:UNUSED_PAD src0_sel:WORD_0 src1_sel:DWORD
	v_lshrrev_b32_e32 v23, 17, v1
	v_mul_lo_u16_e32 v1, 3, v23
	v_sub_u16_e32 v37, v55, v1
	v_lshlrev_b16_e32 v1, 1, v37
	v_lshlrev_b32_e32 v1, 2, v1
	global_load_dwordx2 v[35:36], v1, s[2:3]
	v_add_f16_e32 v19, v19, v11
	v_pack_b32_f16 v19, v8, v19
	ds_read2_b32 v[1:2], v77 offset0:42 offset1:177
	ds_read2_b32 v[6:7], v73 offset0:14 offset1:149
	;; [unrolled: 1-line block ×4, first 2 shown]
	s_waitcnt vmcnt(0) lgkmcnt(0)
	s_barrier
	ds_write2_b32 v89, v19, v22 offset1:3
	v_lshrrev_b32_e32 v19, 16, v3
	v_mul_f16_sdwa v22, v19, v30 dst_sel:DWORD dst_unused:UNUSED_PAD src0_sel:DWORD src1_sel:WORD_1
	v_fma_f16 v22, v3, v30, -v22
	v_mul_f16_sdwa v3, v3, v30 dst_sel:DWORD dst_unused:UNUSED_PAD src0_sel:DWORD src1_sel:WORD_1
	v_fma_f16 v3, v19, v30, v3
	v_fma_f16 v4, v20, s1, v4
	v_lshrrev_b32_e32 v19, 16, v1
	v_mul_f16_sdwa v20, v1, v29 dst_sel:DWORD dst_unused:UNUSED_PAD src0_sel:DWORD src1_sel:WORD_1
	v_fma_f16 v18, v21, s0, v18
	v_fma_f16 v20, v19, v29, v20
	v_mul_f16_sdwa v19, v19, v29 dst_sel:DWORD dst_unused:UNUSED_PAD src0_sel:DWORD src1_sel:WORD_1
	v_lshrrev_b32_e32 v21, 16, v5
	v_fma_f16 v1, v1, v29, -v19
	v_add_f16_e32 v40, v21, v20
	v_add_f16_e32 v19, v1, v22
	;; [unrolled: 1-line block ×3, first 2 shown]
	v_sub_f16_e32 v42, v20, v3
	v_add_f16_e32 v3, v20, v3
	v_fma_f16 v19, v19, -0.5, v5
	v_add_f16_e32 v5, v5, v1
	v_fma_f16 v3, v3, -0.5, v21
	v_sub_f16_e32 v1, v1, v22
	v_pack_b32_f16 v4, v4, v18
	v_add_f16_e32 v5, v5, v22
	ds_write_b32 v89, v4 offset:24
	v_mad_legacy_u16 v4, v12, 9, v13
	v_fma_f16 v12, v42, s0, v19
	v_fma_f16 v13, v1, s1, v3
	v_pack_b32_f16 v5, v5, v40
	v_pack_b32_f16 v12, v12, v13
	v_lshlrev_b32_e32 v90, 2, v4
	v_lshrrev_b32_e32 v4, 16, v2
	ds_write2_b32 v90, v5, v12 offset1:3
	v_mul_f16_sdwa v5, v4, v31 dst_sel:DWORD dst_unused:UNUSED_PAD src0_sel:DWORD src1_sel:WORD_1
	v_fma_f16 v5, v2, v31, -v5
	v_mul_f16_sdwa v2, v2, v31 dst_sel:DWORD dst_unused:UNUSED_PAD src0_sel:DWORD src1_sel:WORD_1
	v_fma_f16 v1, v1, s0, v3
	v_lshrrev_b32_e32 v3, 16, v8
	v_mul_f16_sdwa v12, v8, v32 dst_sel:DWORD dst_unused:UNUSED_PAD src0_sel:DWORD src1_sel:WORD_1
	v_fma_f16 v2, v4, v31, v2
	v_fma_f16 v12, v3, v32, v12
	v_lshrrev_b32_e32 v13, 16, v6
	v_mul_f16_sdwa v3, v3, v32 dst_sel:DWORD dst_unused:UNUSED_PAD src0_sel:DWORD src1_sel:WORD_1
	v_add_f16_e32 v18, v13, v2
	v_fma_f16 v3, v8, v32, -v3
	v_fma_f16 v4, v42, s1, v19
	v_add_f16_e32 v18, v18, v12
	v_sub_f16_e32 v19, v2, v12
	v_add_f16_e32 v2, v2, v12
	v_add_f16_e32 v8, v6, v5
	;; [unrolled: 1-line block ×3, first 2 shown]
	v_fma_f16 v2, v2, -0.5, v13
	v_add_f16_e32 v8, v8, v3
	v_sub_f16_e32 v3, v5, v3
	v_pack_b32_f16 v1, v4, v1
	v_fma_f16 v5, v12, -0.5, v6
	ds_write_b32 v90, v1 offset:24
	v_mad_legacy_u16 v1, v14, 9, v15
	v_pack_b32_f16 v4, v8, v18
	v_fma_f16 v6, v19, s0, v5
	v_fma_f16 v8, v3, s1, v2
	v_pack_b32_f16 v6, v6, v8
	v_lshlrev_b32_e32 v91, 2, v1
	ds_write2_b32 v91, v4, v6 offset1:3
	v_lshrrev_b32_e32 v1, 16, v9
	v_mul_f16_sdwa v6, v9, v34 dst_sel:DWORD dst_unused:UNUSED_PAD src0_sel:DWORD src1_sel:WORD_1
	v_mul_f16_sdwa v4, v1, v34 dst_sel:DWORD dst_unused:UNUSED_PAD src0_sel:DWORD src1_sel:WORD_1
	v_fma_f16 v1, v1, v34, v6
	v_fma_f16 v2, v3, s0, v2
	v_lshrrev_b32_e32 v3, 16, v10
	v_mul_f16_sdwa v6, v10, v33 dst_sel:DWORD dst_unused:UNUSED_PAD src0_sel:DWORD src1_sel:WORD_1
	v_fma_f16 v6, v3, v33, v6
	v_mul_f16_sdwa v3, v3, v33 dst_sel:DWORD dst_unused:UNUSED_PAD src0_sel:DWORD src1_sel:WORD_1
	v_fma_f16 v4, v9, v34, -v4
	v_fma_f16 v3, v10, v33, -v3
	v_lshrrev_b32_e32 v9, 16, v7
	v_add_f16_e32 v8, v3, v4
	v_add_f16_e32 v10, v9, v6
	v_fma_f16 v5, v19, s1, v5
	v_fma_f16 v8, v8, -0.5, v7
	v_add_f16_e32 v7, v7, v3
	v_add_f16_e32 v10, v10, v1
	v_sub_f16_e32 v12, v6, v1
	v_add_f16_e32 v1, v6, v1
	v_fma_f16 v1, v1, -0.5, v9
	v_add_f16_e32 v6, v7, v4
	v_sub_f16_e32 v3, v3, v4
	v_pack_b32_f16 v2, v5, v2
	ds_write_b32 v91, v2 offset:24
	v_mad_legacy_u16 v2, v16, 9, v17
	v_pack_b32_f16 v4, v6, v10
	v_fma_f16 v5, v12, s0, v8
	v_fma_f16 v6, v3, s1, v1
	v_pack_b32_f16 v5, v5, v6
	v_lshlrev_b32_e32 v92, 2, v2
	ds_write2_b32 v92, v4, v5 offset1:3
	v_lshrrev_b32_e32 v2, 16, v11
	v_mul_f16_sdwa v5, v11, v35 dst_sel:DWORD dst_unused:UNUSED_PAD src0_sel:DWORD src1_sel:WORD_1
	v_mul_f16_sdwa v4, v2, v35 dst_sel:DWORD dst_unused:UNUSED_PAD src0_sel:DWORD src1_sel:WORD_1
	v_fma_f16 v2, v2, v35, v5
	v_lshrrev_b32_e32 v5, 16, v38
	v_mul_f16_sdwa v6, v5, v36 dst_sel:DWORD dst_unused:UNUSED_PAD src0_sel:DWORD src1_sel:WORD_1
	v_mul_f16_sdwa v7, v38, v36 dst_sel:DWORD dst_unused:UNUSED_PAD src0_sel:DWORD src1_sel:WORD_1
	v_fma_f16 v4, v11, v35, -v4
	v_fma_f16 v6, v38, v36, -v6
	v_fma_f16 v5, v5, v36, v7
	v_fma_f16 v7, v12, s1, v8
	v_lshrrev_b32_e32 v8, 16, v0
	v_fma_f16 v1, v3, s0, v1
	v_add_f16_e32 v3, v4, v6
	v_add_f16_e32 v9, v8, v2
	v_sub_f16_e32 v10, v2, v5
	v_add_f16_e32 v2, v2, v5
	v_fma_f16 v3, v3, -0.5, v0
	v_add_f16_e32 v0, v0, v4
	v_fma_f16 v2, v2, -0.5, v8
	v_sub_f16_e32 v4, v4, v6
	v_pack_b32_f16 v1, v7, v1
	v_add_f16_e32 v9, v9, v5
	v_add_f16_e32 v0, v0, v6
	ds_write_b32 v92, v1 offset:24
	v_mad_legacy_u16 v1, v23, 9, v37
	v_fma_f16 v5, v10, s0, v3
	v_fma_f16 v6, v4, s1, v2
	v_pack_b32_f16 v0, v0, v9
	v_pack_b32_f16 v5, v5, v6
	v_lshlrev_b32_e32 v94, 2, v1
	ds_write2_b32 v94, v0, v5 offset1:3
	v_fma_f16 v0, v10, s1, v3
	v_fma_f16 v1, v4, s0, v2
	v_pack_b32_f16 v0, v0, v1
	ds_write_b32 v94, v0 offset:24
	v_mov_b32_e32 v0, 57
	v_mul_lo_u16_sdwa v0, v75, v0 dst_sel:DWORD dst_unused:UNUSED_PAD src0_sel:BYTE_0 src1_sel:DWORD
	v_lshrrev_b16_e32 v15, 9, v0
	v_mul_lo_u16_e32 v0, 9, v15
	v_sub_u16_e32 v0, v75, v0
	v_and_b32_e32 v16, 0xff, v0
	v_lshlrev_b32_e32 v0, 4, v16
	s_waitcnt lgkmcnt(0)
	s_barrier
	global_load_dwordx4 v[0:3], v0, s[2:3] offset:24
	ds_read2_b32 v[8:9], v73 offset0:14 offset1:149
	ds_read2_b32 v[10:11], v77 offset0:42 offset1:177
	v_mul_u32_u24_sdwa v4, v41, s16 dst_sel:DWORD dst_unused:UNUSED_PAD src0_sel:WORD_0 src1_sel:DWORD
	v_lshrrev_b32_e32 v37, 19, v4
	v_mul_lo_u16_e32 v4, 9, v37
	s_waitcnt lgkmcnt(1)
	v_lshrrev_b32_e32 v12, 16, v9
	v_sub_u16_e32 v38, v41, v4
	v_lshlrev_b16_e32 v4, 4, v38
	v_mov_b32_e32 v40, s3
	v_add_co_u32_e32 v4, vcc, s2, v4
	v_addc_co_u32_e32 v5, vcc, 0, v40, vcc
	global_load_dwordx4 v[4:7], v[4:5], off offset:24
	v_mul_u32_u24_e32 v15, 45, v15
	v_add_lshl_u32 v93, v15, v16, 2
	s_movk_i32 s6, 0x3b9c
	s_waitcnt vmcnt(1)
	v_mul_f16_sdwa v13, v9, v0 dst_sel:DWORD dst_unused:UNUSED_PAD src0_sel:DWORD src1_sel:WORD_1
	v_fma_f16 v42, v12, v0, v13
	v_mul_f16_sdwa v12, v12, v0 dst_sel:DWORD dst_unused:UNUSED_PAD src0_sel:DWORD src1_sel:WORD_1
	v_fma_f16 v44, v9, v0, -v12
	s_waitcnt lgkmcnt(0)
	v_lshrrev_b32_e32 v9, 16, v10
	ds_read2_b32 v[12:13], v66 offset0:56 offset1:191
	v_mul_f16_sdwa v14, v10, v1 dst_sel:DWORD dst_unused:UNUSED_PAD src0_sel:DWORD src1_sel:WORD_1
	v_fma_f16 v46, v9, v1, v14
	v_mul_f16_sdwa v9, v9, v1 dst_sel:DWORD dst_unused:UNUSED_PAD src0_sel:DWORD src1_sel:WORD_1
	v_fma_f16 v47, v10, v1, -v9
	ds_read2_b32 v[9:10], v70 offset0:84 offset1:219
	s_waitcnt lgkmcnt(1)
	v_lshrrev_b32_e32 v14, 16, v13
	v_mul_f16_sdwa v17, v13, v2 dst_sel:DWORD dst_unused:UNUSED_PAD src0_sel:DWORD src1_sel:WORD_1
	v_fma_f16 v48, v14, v2, v17
	v_mul_f16_sdwa v14, v14, v2 dst_sel:DWORD dst_unused:UNUSED_PAD src0_sel:DWORD src1_sel:WORD_1
	v_fma_f16 v49, v13, v2, -v14
	s_waitcnt lgkmcnt(0)
	v_lshrrev_b32_e32 v13, 16, v9
	v_mul_f16_sdwa v14, v9, v3 dst_sel:DWORD dst_unused:UNUSED_PAD src0_sel:DWORD src1_sel:WORD_1
	v_fma_f16 v50, v13, v3, v14
	v_mul_f16_sdwa v13, v13, v3 dst_sel:DWORD dst_unused:UNUSED_PAD src0_sel:DWORD src1_sel:WORD_1
	v_fma_f16 v9, v9, v3, -v13
	v_sub_f16_e32 v13, v44, v47
	v_sub_f16_e32 v14, v9, v49
	v_add_f16_e32 v51, v13, v14
	ds_read2_b32 v[13:14], v57 offset1:135
	v_sub_f16_e32 v95, v42, v50
	v_sub_f16_e32 v98, v44, v9
	;; [unrolled: 1-line block ×4, first 2 shown]
	s_waitcnt lgkmcnt(0)
	v_lshrrev_b32_e32 v53, 16, v13
	v_add_f16_e32 v15, v13, v44
	v_add_f16_e32 v16, v53, v42
	;; [unrolled: 1-line block ×8, first 2 shown]
	v_pack_b32_f16 v54, v15, v16
	v_add_f16_e32 v15, v47, v49
	v_add_f16_e32 v16, v46, v48
	v_fma_f16 v56, v15, -0.5, v13
	v_fma_f16 v97, v16, -0.5, v53
	v_fma_f16 v15, v95, s6, v56
	v_sub_f16_e32 v96, v46, v48
	v_fma_f16 v16, v98, s13, v97
	v_sub_f16_e32 v99, v47, v49
	v_add_f16_e32 v52, v17, v18
	v_fma_f16 v15, v96, s7, v15
	v_fma_f16 v16, v99, s14, v16
	;; [unrolled: 1-line block ×4, first 2 shown]
	v_pack_b32_f16 v100, v15, v16
	v_mul_u32_u24_sdwa v15, v43, s16 dst_sel:DWORD dst_unused:UNUSED_PAD src0_sel:WORD_0 src1_sel:DWORD
	v_lshrrev_b32_e32 v101, 19, v15
	v_mul_lo_u16_e32 v15, 9, v101
	v_sub_u16_e32 v102, v43, v15
	v_lshlrev_b16_e32 v15, 4, v102
	v_add_co_u32_e32 v15, vcc, s2, v15
	v_addc_co_u32_e32 v16, vcc, 0, v40, vcc
	ds_read_b32 v103, v57 offset:7560
	ds_read2_b32 v[20:21], v79 offset0:28 offset1:163
	ds_read2_b32 v[22:23], v78 offset0:70 offset1:205
	global_load_dwordx4 v[16:19], v[15:16], off offset:24
	v_sub_f16_e32 v15, v47, v44
	v_add_f16_e32 v44, v44, v9
	v_sub_f16_e32 v9, v49, v9
	v_fma_f16 v13, v44, -0.5, v13
	v_add_f16_e32 v9, v15, v9
	v_fma_f16 v15, v96, s13, v13
	v_fma_f16 v13, v96, s6, v13
	;; [unrolled: 1-line block ×6, first 2 shown]
	v_add_f16_e32 v13, v42, v50
	v_fma_f16 v13, v13, -0.5, v53
	v_sub_f16_e32 v42, v46, v42
	v_sub_f16_e32 v44, v48, v50
	v_add_f16_e32 v42, v42, v44
	v_fma_f16 v44, v99, s6, v13
	v_fma_f16 v13, v99, s13, v13
	;; [unrolled: 1-line block ×6, first 2 shown]
	v_pack_b32_f16 v15, v15, v44
	v_pack_b32_f16 v9, v9, v13
	s_waitcnt vmcnt(0) lgkmcnt(0)
	s_barrier
	ds_write2_b32 v93, v15, v9 offset0:18 offset1:27
	v_lshrrev_b32_e32 v9, 16, v11
	v_mul_f16_sdwa v13, v9, v5 dst_sel:DWORD dst_unused:UNUSED_PAD src0_sel:DWORD src1_sel:WORD_1
	v_fma_f16 v13, v11, v5, -v13
	v_mul_f16_sdwa v11, v11, v5 dst_sel:DWORD dst_unused:UNUSED_PAD src0_sel:DWORD src1_sel:WORD_1
	v_fma_f16 v9, v9, v5, v11
	v_lshrrev_b32_e32 v11, 16, v10
	v_mul_f16_sdwa v15, v11, v7 dst_sel:DWORD dst_unused:UNUSED_PAD src0_sel:DWORD src1_sel:WORD_1
	v_lshrrev_b32_e32 v44, 16, v20
	v_mul_f16_sdwa v46, v20, v4 dst_sel:DWORD dst_unused:UNUSED_PAD src0_sel:DWORD src1_sel:WORD_1
	v_fma_f16 v15, v10, v7, -v15
	v_mul_f16_sdwa v10, v10, v7 dst_sel:DWORD dst_unused:UNUSED_PAD src0_sel:DWORD src1_sel:WORD_1
	v_fma_f16 v46, v44, v4, v46
	v_mul_f16_sdwa v44, v44, v4 dst_sel:DWORD dst_unused:UNUSED_PAD src0_sel:DWORD src1_sel:WORD_1
	v_fma_f16 v10, v11, v7, v10
	v_fma_f16 v11, v95, s13, v56
	;; [unrolled: 1-line block ×3, first 2 shown]
	v_fma_f16 v20, v20, v4, -v44
	v_lshrrev_b32_e32 v44, 16, v22
	v_mul_f16_sdwa v47, v22, v6 dst_sel:DWORD dst_unused:UNUSED_PAD src0_sel:DWORD src1_sel:WORD_1
	v_fma_f16 v11, v96, s14, v11
	v_fma_f16 v42, v99, s7, v42
	;; [unrolled: 1-line block ×3, first 2 shown]
	v_mul_f16_sdwa v44, v44, v6 dst_sel:DWORD dst_unused:UNUSED_PAD src0_sel:DWORD src1_sel:WORD_1
	v_fma_f16 v11, v51, s12, v11
	v_fma_f16 v42, v52, s12, v42
	v_fma_f16 v22, v22, v6, -v44
	v_add_f16_e32 v44, v13, v22
	v_add_f16_e32 v48, v20, v15
	v_lshrrev_b32_e32 v49, 16, v14
	v_pack_b32_f16 v11, v11, v42
	v_fma_f16 v44, v44, -0.5, v14
	v_fma_f16 v48, v48, -0.5, v14
	v_add_f16_e32 v14, v14, v20
	ds_write_b32 v93, v11 offset:144
	v_mad_legacy_u16 v11, v37, 45, v38
	v_add_f16_e32 v37, v49, v46
	v_sub_f16_e32 v50, v20, v13
	v_sub_f16_e32 v51, v15, v22
	v_add_f16_e32 v14, v14, v13
	v_add_f16_e32 v37, v37, v9
	;; [unrolled: 1-line block ×3, first 2 shown]
	v_sub_f16_e32 v51, v46, v9
	v_sub_f16_e32 v52, v10, v47
	v_add_f16_e32 v14, v14, v22
	v_add_f16_e32 v37, v37, v47
	;; [unrolled: 1-line block ×6, first 2 shown]
	v_pack_b32_f16 v14, v14, v37
	v_sub_f16_e32 v37, v46, v10
	v_fma_f16 v52, v52, -0.5, v49
	v_sub_f16_e32 v53, v20, v15
	ds_write2_b32 v93, v54, v100 offset1:9
	v_fma_f16 v38, v37, s6, v44
	v_sub_f16_e32 v42, v9, v47
	v_fma_f16 v54, v53, s13, v52
	v_sub_f16_e32 v56, v13, v22
	v_fma_f16 v38, v42, s7, v38
	v_fma_f16 v54, v56, s14, v54
	;; [unrolled: 1-line block ×4, first 2 shown]
	v_pack_b32_f16 v38, v38, v54
	v_lshlrev_b32_e32 v95, 2, v11
	v_sub_f16_e32 v11, v13, v20
	v_sub_f16_e32 v13, v22, v15
	ds_write2_b32 v95, v14, v38 offset1:9
	v_add_f16_e32 v11, v11, v13
	v_fma_f16 v13, v42, s13, v48
	v_fma_f16 v14, v42, s6, v48
	;; [unrolled: 1-line block ×6, first 2 shown]
	v_add_f16_e32 v14, v46, v10
	v_fma_f16 v14, v14, -0.5, v49
	v_sub_f16_e32 v9, v9, v46
	v_sub_f16_e32 v10, v47, v10
	v_add_f16_e32 v9, v9, v10
	v_fma_f16 v10, v56, s6, v14
	v_fma_f16 v14, v56, s13, v14
	;; [unrolled: 1-line block ×6, first 2 shown]
	v_pack_b32_f16 v10, v13, v10
	v_pack_b32_f16 v9, v11, v9
	ds_write2_b32 v95, v10, v9 offset0:18 offset1:27
	v_lshrrev_b32_e32 v9, 16, v21
	v_mul_f16_sdwa v11, v21, v16 dst_sel:DWORD dst_unused:UNUSED_PAD src0_sel:DWORD src1_sel:WORD_1
	v_mul_f16_sdwa v10, v9, v16 dst_sel:DWORD dst_unused:UNUSED_PAD src0_sel:DWORD src1_sel:WORD_1
	v_fma_f16 v9, v9, v16, v11
	v_lshrrev_b32_e32 v11, 16, v12
	v_mul_f16_sdwa v13, v11, v17 dst_sel:DWORD dst_unused:UNUSED_PAD src0_sel:DWORD src1_sel:WORD_1
	v_fma_f16 v13, v12, v17, -v13
	v_mul_f16_sdwa v12, v12, v17 dst_sel:DWORD dst_unused:UNUSED_PAD src0_sel:DWORD src1_sel:WORD_1
	v_fma_f16 v11, v11, v17, v12
	v_lshrrev_b32_e32 v12, 16, v23
	v_mul_f16_sdwa v15, v23, v18 dst_sel:DWORD dst_unused:UNUSED_PAD src0_sel:DWORD src1_sel:WORD_1
	v_fma_f16 v10, v21, v16, -v10
	v_mul_f16_sdwa v14, v12, v18 dst_sel:DWORD dst_unused:UNUSED_PAD src0_sel:DWORD src1_sel:WORD_1
	v_fma_f16 v12, v12, v18, v15
	v_lshrrev_b32_e32 v15, 16, v103
	v_mul_f16_sdwa v21, v103, v19 dst_sel:DWORD dst_unused:UNUSED_PAD src0_sel:DWORD src1_sel:WORD_1
	v_mul_f16_sdwa v20, v15, v19 dst_sel:DWORD dst_unused:UNUSED_PAD src0_sel:DWORD src1_sel:WORD_1
	v_fma_f16 v15, v15, v19, v21
	v_fma_f16 v21, v37, s13, v44
	;; [unrolled: 1-line block ×3, first 2 shown]
	v_fma_f16 v14, v23, v18, -v14
	v_fma_f16 v20, v103, v19, -v20
	v_fma_f16 v21, v42, s14, v21
	v_fma_f16 v22, v56, s7, v22
	;; [unrolled: 1-line block ×4, first 2 shown]
	v_add_f16_e32 v23, v13, v14
	v_add_f16_e32 v37, v10, v20
	v_lshrrev_b32_e32 v38, 16, v8
	v_fma_f16 v23, v23, -0.5, v8
	v_fma_f16 v37, v37, -0.5, v8
	v_add_f16_e32 v8, v8, v10
	v_pack_b32_f16 v21, v21, v22
	v_add_f16_e32 v22, v38, v9
	v_add_f16_e32 v8, v8, v13
	;; [unrolled: 1-line block ×5, first 2 shown]
	v_sub_f16_e32 v42, v10, v13
	v_sub_f16_e32 v44, v20, v14
	v_add_f16_e32 v8, v8, v20
	v_add_f16_e32 v22, v22, v15
	;; [unrolled: 1-line block ×4, first 2 shown]
	v_sub_f16_e32 v44, v9, v11
	v_sub_f16_e32 v46, v15, v12
	v_pack_b32_f16 v8, v8, v22
	v_sub_f16_e32 v22, v9, v15
	v_fma_f16 v48, v48, -0.5, v38
	v_sub_f16_e32 v49, v10, v20
	v_add_f16_e32 v44, v44, v46
	v_fma_f16 v46, v22, s6, v23
	v_sub_f16_e32 v47, v11, v12
	v_fma_f16 v50, v49, s13, v48
	v_sub_f16_e32 v51, v13, v14
	v_fma_f16 v46, v47, s7, v46
	v_fma_f16 v50, v51, s14, v50
	ds_write_b32 v95, v21 offset:144
	v_mad_legacy_u16 v21, v101, 45, v102
	v_fma_f16 v46, v42, s12, v46
	v_fma_f16 v50, v44, s12, v50
	v_pack_b32_f16 v46, v46, v50
	v_lshlrev_b32_e32 v97, 2, v21
	ds_write2_b32 v97, v8, v46 offset1:9
	v_sub_f16_e32 v8, v13, v10
	v_sub_f16_e32 v10, v14, v20
	v_add_f16_e32 v8, v8, v10
	v_fma_f16 v10, v47, s13, v37
	v_fma_f16 v13, v47, s6, v37
	;; [unrolled: 1-line block ×6, first 2 shown]
	v_add_f16_e32 v13, v9, v15
	v_fma_f16 v13, v13, -0.5, v38
	v_sub_f16_e32 v9, v11, v9
	v_sub_f16_e32 v11, v12, v15
	v_add_f16_e32 v9, v9, v11
	v_fma_f16 v11, v51, s6, v13
	v_fma_f16 v12, v51, s13, v13
	;; [unrolled: 1-line block ×6, first 2 shown]
	v_pack_b32_f16 v10, v10, v11
	v_pack_b32_f16 v8, v8, v9
	ds_write2_b32 v97, v10, v8 offset0:18 offset1:27
	v_fma_f16 v8, v22, s13, v23
	v_fma_f16 v9, v49, s6, v48
	v_fma_f16 v8, v47, s14, v8
	v_fma_f16 v9, v51, s7, v9
	v_fma_f16 v8, v42, s12, v8
	v_fma_f16 v9, v44, s12, v9
	v_pack_b32_f16 v8, v8, v9
	s_movk_i32 s16, 0x6d
	ds_write_b32 v97, v8 offset:144
	v_mul_lo_u16_sdwa v8, v75, s16 dst_sel:DWORD dst_unused:UNUSED_PAD src0_sel:BYTE_0 src1_sel:DWORD
	v_sub_u16_sdwa v9, v75, v8 dst_sel:DWORD dst_unused:UNUSED_PAD src0_sel:DWORD src1_sel:BYTE_1
	v_lshrrev_b16_e32 v9, 1, v9
	v_and_b32_e32 v9, 0x7f, v9
	v_add_u16_sdwa v8, v9, v8 dst_sel:DWORD dst_unused:UNUSED_PAD src0_sel:DWORD src1_sel:BYTE_1
	v_lshrrev_b16_e32 v20, 5, v8
	v_mul_lo_u16_e32 v8, 45, v20
	v_sub_u16_e32 v8, v75, v8
	v_and_b32_e32 v21, 0xff, v8
	v_lshlrev_b32_e32 v8, 4, v21
	s_waitcnt lgkmcnt(0)
	s_barrier
	global_load_dwordx4 v[8:11], v8, s[2:3] offset:168
	ds_read2_b32 v[37:38], v73 offset0:14 offset1:149
	s_movk_i32 s16, 0x2d83
	v_mul_u32_u24_sdwa v12, v41, s16 dst_sel:DWORD dst_unused:UNUSED_PAD src0_sel:WORD_0 src1_sel:DWORD
	ds_read2_b32 v[46:47], v77 offset0:42 offset1:177
	v_lshrrev_b32_e32 v42, 19, v12
	v_mul_lo_u16_e32 v12, 45, v42
	ds_read2_b32 v[48:49], v66 offset0:56 offset1:191
	v_sub_u16_e32 v44, v41, v12
	s_waitcnt lgkmcnt(2)
	v_lshrrev_b32_e32 v22, 16, v38
	v_lshlrev_b16_e32 v12, 4, v44
	ds_read2_b32 v[50:51], v70 offset0:84 offset1:219
	v_add_co_u32_e32 v12, vcc, s2, v12
	v_addc_co_u32_e32 v13, vcc, 0, v40, vcc
	global_load_dwordx4 v[12:15], v[12:13], off offset:168
	v_mul_u32_u24_e32 v20, 0xe1, v20
	v_add_lshl_u32 v96, v20, v21, 2
	s_waitcnt vmcnt(1)
	v_mul_f16_sdwa v23, v38, v8 dst_sel:DWORD dst_unused:UNUSED_PAD src0_sel:DWORD src1_sel:WORD_1
	v_fma_f16 v54, v22, v8, v23
	v_mul_f16_sdwa v22, v22, v8 dst_sel:DWORD dst_unused:UNUSED_PAD src0_sel:DWORD src1_sel:WORD_1
	v_fma_f16 v38, v38, v8, -v22
	s_waitcnt lgkmcnt(2)
	v_lshrrev_b32_e32 v22, 16, v46
	v_mul_f16_sdwa v23, v46, v9 dst_sel:DWORD dst_unused:UNUSED_PAD src0_sel:DWORD src1_sel:WORD_1
	v_fma_f16 v56, v22, v9, v23
	v_mul_f16_sdwa v22, v22, v9 dst_sel:DWORD dst_unused:UNUSED_PAD src0_sel:DWORD src1_sel:WORD_1
	v_fma_f16 v46, v46, v9, -v22
	s_waitcnt lgkmcnt(1)
	v_lshrrev_b32_e32 v22, 16, v49
	;; [unrolled: 6-line block ×3, first 2 shown]
	v_mul_f16_sdwa v23, v50, v11 dst_sel:DWORD dst_unused:UNUSED_PAD src0_sel:DWORD src1_sel:WORD_1
	v_fma_f16 v102, v22, v11, v23
	v_mul_f16_sdwa v22, v22, v11 dst_sel:DWORD dst_unused:UNUSED_PAD src0_sel:DWORD src1_sel:WORD_1
	v_fma_f16 v103, v50, v11, -v22
	ds_read2_b32 v[49:50], v57 offset1:135
	v_sub_f16_e32 v22, v38, v46
	v_sub_f16_e32 v23, v103, v101
	;; [unrolled: 1-line block ×4, first 2 shown]
	s_waitcnt lgkmcnt(0)
	v_lshrrev_b32_e32 v106, 16, v49
	v_add_f16_e32 v20, v49, v38
	v_add_f16_e32 v21, v106, v54
	;; [unrolled: 1-line block ×8, first 2 shown]
	v_pack_b32_f16 v107, v20, v21
	v_add_f16_e32 v20, v46, v101
	v_add_f16_e32 v21, v56, v100
	v_fma_f16 v108, v20, -0.5, v49
	v_fma_f16 v111, v21, -0.5, v106
	v_add_f16_e32 v104, v22, v23
	v_sub_f16_e32 v22, v54, v56
	v_sub_f16_e32 v23, v102, v100
	v_fma_f16 v20, v109, s6, v108
	v_sub_f16_e32 v110, v56, v100
	v_fma_f16 v21, v112, s13, v111
	v_sub_f16_e32 v113, v46, v101
	v_add_f16_e32 v105, v22, v23
	v_fma_f16 v20, v110, s7, v20
	v_fma_f16 v21, v113, s14, v21
	v_fma_f16 v20, v104, s12, v20
	v_fma_f16 v21, v105, s12, v21
	v_pack_b32_f16 v114, v20, v21
	v_mul_u32_u24_sdwa v20, v43, s16 dst_sel:DWORD dst_unused:UNUSED_PAD src0_sel:WORD_0 src1_sel:DWORD
	v_lshrrev_b32_e32 v115, 19, v20
	v_mul_lo_u16_e32 v20, 45, v115
	v_sub_u16_e32 v116, v43, v20
	v_lshlrev_b16_e32 v20, 4, v116
	v_add_co_u32_e32 v20, vcc, s2, v20
	v_addc_co_u32_e32 v21, vcc, 0, v40, vcc
	ds_read_b32 v117, v57 offset:7560
	ds_read2_b32 v[52:53], v79 offset0:28 offset1:163
	ds_read2_b32 v[98:99], v78 offset0:70 offset1:205
	global_load_dwordx4 v[20:23], v[20:21], off offset:168
	v_sub_f16_e32 v46, v46, v38
	v_add_f16_e32 v38, v38, v103
	v_fma_f16 v38, v38, -0.5, v49
	v_sub_f16_e32 v101, v101, v103
	v_fma_f16 v49, v110, s13, v38
	v_fma_f16 v38, v110, s6, v38
	v_add_f16_e32 v46, v46, v101
	v_fma_f16 v49, v109, s7, v49
	v_fma_f16 v38, v109, s14, v38
	;; [unrolled: 1-line block ×4, first 2 shown]
	v_add_f16_e32 v46, v54, v102
	v_fma_f16 v46, v46, -0.5, v106
	v_sub_f16_e32 v54, v56, v54
	v_sub_f16_e32 v56, v100, v102
	v_add_f16_e32 v54, v54, v56
	v_fma_f16 v56, v113, s6, v46
	v_fma_f16 v46, v113, s13, v46
	;; [unrolled: 1-line block ×6, first 2 shown]
	v_pack_b32_f16 v49, v49, v56
	v_pack_b32_f16 v38, v38, v46
	s_waitcnt vmcnt(0) lgkmcnt(0)
	s_barrier
	ds_write2_b32 v96, v49, v38 offset0:90 offset1:135
	v_lshrrev_b32_e32 v38, 16, v47
	v_mul_f16_sdwa v46, v38, v13 dst_sel:DWORD dst_unused:UNUSED_PAD src0_sel:DWORD src1_sel:WORD_1
	v_lshrrev_b32_e32 v56, 16, v52
	v_mul_f16_sdwa v100, v52, v12 dst_sel:DWORD dst_unused:UNUSED_PAD src0_sel:DWORD src1_sel:WORD_1
	v_fma_f16 v46, v47, v13, -v46
	v_mul_f16_sdwa v47, v47, v13 dst_sel:DWORD dst_unused:UNUSED_PAD src0_sel:DWORD src1_sel:WORD_1
	v_fma_f16 v100, v56, v12, v100
	v_mul_f16_sdwa v56, v56, v12 dst_sel:DWORD dst_unused:UNUSED_PAD src0_sel:DWORD src1_sel:WORD_1
	v_fma_f16 v38, v38, v13, v47
	v_lshrrev_b32_e32 v47, 16, v51
	v_fma_f16 v52, v52, v12, -v56
	v_lshrrev_b32_e32 v56, 16, v98
	v_mul_f16_sdwa v101, v98, v14 dst_sel:DWORD dst_unused:UNUSED_PAD src0_sel:DWORD src1_sel:WORD_1
	v_mul_f16_sdwa v49, v47, v15 dst_sel:DWORD dst_unused:UNUSED_PAD src0_sel:DWORD src1_sel:WORD_1
	v_fma_f16 v101, v56, v14, v101
	v_mul_f16_sdwa v56, v56, v14 dst_sel:DWORD dst_unused:UNUSED_PAD src0_sel:DWORD src1_sel:WORD_1
	v_fma_f16 v49, v51, v15, -v49
	v_mul_f16_sdwa v51, v51, v15 dst_sel:DWORD dst_unused:UNUSED_PAD src0_sel:DWORD src1_sel:WORD_1
	v_fma_f16 v56, v98, v14, -v56
	v_fma_f16 v47, v47, v15, v51
	v_fma_f16 v51, v109, s13, v108
	v_add_f16_e32 v98, v46, v56
	v_fma_f16 v51, v110, s14, v51
	v_fma_f16 v102, v98, -0.5, v50
	v_add_f16_e32 v98, v52, v49
	v_fma_f16 v51, v104, s12, v51
	v_fma_f16 v54, v112, s6, v111
	v_fma_f16 v103, v98, -0.5, v50
	v_lshrrev_b32_e32 v104, 16, v50
	v_add_f16_e32 v50, v50, v52
	s_movk_i32 s16, 0xe1
	v_fma_f16 v54, v113, s7, v54
	v_mad_legacy_u16 v42, v42, s16, v44
	v_add_f16_e32 v44, v50, v46
	v_add_f16_e32 v50, v104, v100
	v_fma_f16 v54, v105, s12, v54
	v_sub_f16_e32 v98, v52, v46
	v_sub_f16_e32 v105, v49, v56
	v_add_f16_e32 v50, v50, v38
	v_add_f16_e32 v105, v98, v105
	v_sub_f16_e32 v98, v100, v38
	v_sub_f16_e32 v106, v47, v101
	v_add_f16_e32 v44, v44, v56
	v_add_f16_e32 v50, v50, v101
	v_add_f16_e32 v106, v98, v106
	v_add_f16_e32 v44, v44, v49
	v_add_f16_e32 v50, v50, v47
	v_add_f16_e32 v98, v38, v101
	ds_write2_b32 v96, v107, v114 offset1:45
	v_pack_b32_f16 v51, v51, v54
	v_pack_b32_f16 v44, v44, v50
	v_sub_f16_e32 v50, v100, v47
	v_fma_f16 v107, v98, -0.5, v104
	v_sub_f16_e32 v108, v52, v49
	ds_write_b32 v96, v51 offset:720
	v_fma_f16 v51, v50, s6, v102
	v_sub_f16_e32 v54, v38, v101
	v_fma_f16 v98, v108, s13, v107
	v_sub_f16_e32 v109, v46, v56
	v_fma_f16 v51, v54, s7, v51
	v_fma_f16 v98, v109, s14, v98
	;; [unrolled: 1-line block ×4, first 2 shown]
	v_pack_b32_f16 v51, v51, v98
	v_lshlrev_b32_e32 v98, 2, v42
	ds_write2_b32 v98, v44, v51 offset1:45
	v_sub_f16_e32 v42, v46, v52
	v_sub_f16_e32 v44, v56, v49
	v_add_f16_e32 v42, v42, v44
	v_fma_f16 v44, v54, s13, v103
	v_fma_f16 v46, v54, s6, v103
	;; [unrolled: 1-line block ×6, first 2 shown]
	v_add_f16_e32 v46, v100, v47
	v_fma_f16 v46, v46, -0.5, v104
	v_sub_f16_e32 v38, v38, v100
	v_sub_f16_e32 v47, v101, v47
	v_add_f16_e32 v38, v38, v47
	v_fma_f16 v47, v109, s6, v46
	v_fma_f16 v46, v109, s13, v46
	;; [unrolled: 1-line block ×6, first 2 shown]
	v_pack_b32_f16 v44, v44, v47
	v_pack_b32_f16 v38, v42, v38
	ds_write2_b32 v98, v44, v38 offset0:90 offset1:135
	v_lshrrev_b32_e32 v38, 16, v53
	v_mul_f16_sdwa v44, v53, v20 dst_sel:DWORD dst_unused:UNUSED_PAD src0_sel:DWORD src1_sel:WORD_1
	v_mul_f16_sdwa v42, v38, v20 dst_sel:DWORD dst_unused:UNUSED_PAD src0_sel:DWORD src1_sel:WORD_1
	v_fma_f16 v38, v38, v20, v44
	v_lshrrev_b32_e32 v44, 16, v48
	v_mul_f16_sdwa v47, v48, v21 dst_sel:DWORD dst_unused:UNUSED_PAD src0_sel:DWORD src1_sel:WORD_1
	v_mul_f16_sdwa v46, v44, v21 dst_sel:DWORD dst_unused:UNUSED_PAD src0_sel:DWORD src1_sel:WORD_1
	v_fma_f16 v44, v44, v21, v47
	v_lshrrev_b32_e32 v47, 16, v99
	v_mul_f16_sdwa v49, v99, v22 dst_sel:DWORD dst_unused:UNUSED_PAD src0_sel:DWORD src1_sel:WORD_1
	v_fma_f16 v46, v48, v21, -v46
	v_mul_f16_sdwa v48, v47, v22 dst_sel:DWORD dst_unused:UNUSED_PAD src0_sel:DWORD src1_sel:WORD_1
	v_fma_f16 v47, v47, v22, v49
	v_lshrrev_b32_e32 v49, 16, v117
	v_mul_f16_sdwa v52, v117, v23 dst_sel:DWORD dst_unused:UNUSED_PAD src0_sel:DWORD src1_sel:WORD_1
	v_mul_f16_sdwa v51, v49, v23 dst_sel:DWORD dst_unused:UNUSED_PAD src0_sel:DWORD src1_sel:WORD_1
	v_fma_f16 v49, v49, v23, v52
	v_fma_f16 v50, v50, s13, v102
	;; [unrolled: 1-line block ×3, first 2 shown]
	v_fma_f16 v42, v53, v20, -v42
	v_fma_f16 v48, v99, v22, -v48
	;; [unrolled: 1-line block ×3, first 2 shown]
	v_fma_f16 v50, v54, s14, v50
	v_fma_f16 v52, v109, s7, v52
	;; [unrolled: 1-line block ×4, first 2 shown]
	v_add_f16_e32 v53, v46, v48
	v_add_f16_e32 v54, v42, v51
	v_lshrrev_b32_e32 v56, 16, v37
	v_fma_f16 v53, v53, -0.5, v37
	v_fma_f16 v54, v54, -0.5, v37
	v_add_f16_e32 v37, v37, v42
	v_pack_b32_f16 v50, v50, v52
	v_add_f16_e32 v52, v56, v38
	v_add_f16_e32 v37, v37, v46
	;; [unrolled: 1-line block ×5, first 2 shown]
	v_sub_f16_e32 v99, v42, v46
	v_sub_f16_e32 v100, v51, v48
	v_add_f16_e32 v37, v37, v51
	v_add_f16_e32 v52, v52, v49
	v_add_f16_e32 v103, v44, v47
	v_add_f16_e32 v100, v99, v100
	v_sub_f16_e32 v99, v38, v44
	v_sub_f16_e32 v101, v49, v47
	v_pack_b32_f16 v37, v37, v52
	v_sub_f16_e32 v52, v38, v49
	v_fma_f16 v103, v103, -0.5, v56
	v_sub_f16_e32 v104, v42, v51
	v_add_f16_e32 v101, v99, v101
	v_fma_f16 v99, v52, s6, v53
	v_sub_f16_e32 v102, v44, v47
	v_fma_f16 v105, v104, s13, v103
	v_sub_f16_e32 v106, v46, v48
	v_fma_f16 v99, v102, s7, v99
	v_fma_f16 v105, v106, s14, v105
	ds_write_b32 v98, v50 offset:720
	v_mad_legacy_u16 v50, v115, s16, v116
	v_fma_f16 v99, v100, s12, v99
	v_fma_f16 v105, v101, s12, v105
	v_pack_b32_f16 v105, v99, v105
	v_lshlrev_b32_e32 v99, 2, v50
	ds_write2_b32 v99, v37, v105 offset1:45
	v_sub_f16_e32 v37, v46, v42
	v_sub_f16_e32 v42, v48, v51
	v_add_f16_e32 v37, v37, v42
	v_fma_f16 v42, v102, s13, v54
	v_fma_f16 v46, v102, s6, v54
	;; [unrolled: 1-line block ×6, first 2 shown]
	v_add_f16_e32 v46, v38, v49
	v_fma_f16 v46, v46, -0.5, v56
	v_sub_f16_e32 v38, v44, v38
	v_sub_f16_e32 v44, v47, v49
	v_add_f16_e32 v38, v38, v44
	v_fma_f16 v44, v106, s6, v46
	v_fma_f16 v46, v106, s13, v46
	;; [unrolled: 1-line block ×6, first 2 shown]
	v_pack_b32_f16 v42, v42, v44
	v_pack_b32_f16 v37, v37, v38
	ds_write2_b32 v99, v42, v37 offset0:90 offset1:135
	v_fma_f16 v37, v52, s13, v53
	v_fma_f16 v38, v104, s6, v103
	;; [unrolled: 1-line block ×6, first 2 shown]
	v_pack_b32_f16 v37, v37, v38
	v_lshlrev_b32_e32 v42, 3, v75
	ds_write_b32 v99, v37 offset:720
	s_waitcnt lgkmcnt(0)
	s_barrier
	global_load_dwordx2 v[37:38], v42, s[2:3] offset:888
	s_movk_i32 s16, 0xffa6
	v_add_co_u32_e32 v44, vcc, s16, v75
	v_addc_co_u32_e64 v46, s[16:17], 0, -1, vcc
	v_cmp_gt_u16_e32 vcc, s18, v75
	v_cndmask_b32_e32 v47, v46, v39, vcc
	v_cndmask_b32_e32 v46, v44, v41, vcc
	v_lshlrev_b64 v[47:48], 3, v[46:47]
	s_mov_b32 s16, 0x91a3
	v_add_co_u32_e32 v47, vcc, s2, v47
	v_addc_co_u32_e32 v48, vcc, v40, v48, vcc
	global_load_dwordx2 v[47:48], v[47:48], off offset:888
	v_mul_u32_u24_sdwa v39, v45, s16 dst_sel:DWORD dst_unused:UNUSED_PAD src0_sel:WORD_0 src1_sel:DWORD
	v_lshrrev_b32_e32 v44, 23, v39
	v_mul_lo_u16_e32 v39, 0xe1, v44
	v_sub_u16_e32 v56, v45, v39
	v_lshlrev_b16_e32 v39, 3, v56
	v_add_co_u32_e32 v53, vcc, s2, v39
	v_addc_co_u32_e32 v54, vcc, 0, v40, vcc
	global_load_dwordx2 v[51:52], v[53:54], off offset:888
	global_load_dwordx2 v[49:50], v42, s[2:3] offset:1248
	ds_read2_b32 v[103:104], v79 offset0:28 offset1:163
	ds_read2_b32 v[100:101], v78 offset0:70 offset1:205
	ds_read2_b32 v[105:106], v57 offset1:135
	v_mul_u32_u24_sdwa v39, v55, s16 dst_sel:DWORD dst_unused:UNUSED_PAD src0_sel:WORD_0 src1_sel:DWORD
	v_lshrrev_b32_e32 v39, 23, v39
	s_waitcnt lgkmcnt(2)
	v_lshrrev_b32_e32 v53, 16, v104
	s_waitcnt lgkmcnt(1)
	;; [unrolled: 2-line block ×3, first 2 shown]
	v_lshrrev_b32_e32 v108, 16, v105
	v_mul_lo_u16_e32 v39, 0xe1, v39
	v_sub_u16_e32 v111, v55, v39
	v_lshlrev_b16_e32 v39, 3, v111
	v_add_co_u32_e32 v39, vcc, s2, v39
	v_addc_co_u32_e32 v40, vcc, 0, v40, vcc
	s_movk_i32 s16, 0x59
	v_cmp_lt_u16_e32 vcc, s16, v75
	s_movk_i32 s16, 0x2a3
	v_lshlrev_b32_e32 v41, 3, v41
	v_lshlrev_b32_e32 v45, 3, v45
	;; [unrolled: 1-line block ×4, first 2 shown]
	s_waitcnt vmcnt(3)
	v_mul_f16_sdwa v54, v104, v37 dst_sel:DWORD dst_unused:UNUSED_PAD src0_sel:DWORD src1_sel:WORD_1
	v_mul_f16_sdwa v107, v100, v38 dst_sel:DWORD dst_unused:UNUSED_PAD src0_sel:DWORD src1_sel:WORD_1
	v_fma_f16 v54, v53, v37, v54
	v_fma_f16 v107, v102, v38, v107
	v_add_f16_e32 v109, v108, v54
	v_sub_f16_e32 v112, v54, v107
	v_add_f16_e32 v54, v54, v107
	v_fma_f16 v113, v54, -0.5, v108
	v_mul_f16_sdwa v53, v53, v37 dst_sel:DWORD dst_unused:UNUSED_PAD src0_sel:DWORD src1_sel:WORD_1
	v_mul_f16_sdwa v54, v102, v38 dst_sel:DWORD dst_unused:UNUSED_PAD src0_sel:DWORD src1_sel:WORD_1
	v_fma_f16 v53, v104, v37, -v53
	v_fma_f16 v54, v100, v38, -v54
	v_add_f16_e32 v102, v53, v54
	v_add_f16_e32 v100, v105, v53
	v_sub_f16_e32 v114, v53, v54
	v_fma_f16 v102, v102, -0.5, v105
	v_add_f16_e32 v100, v100, v54
	v_fma_f16 v53, v112, s0, v102
	v_fma_f16 v54, v114, s1, v113
	v_pack_b32_f16 v115, v53, v54
	global_load_dwordx2 v[53:54], v[39:40], off offset:888
	v_add_f16_e32 v109, v109, v107
	v_pack_b32_f16 v100, v100, v109
	ds_read_b32 v116, v57 offset:7560
	ds_read2_b32 v[39:40], v77 offset0:42 offset1:177
	ds_read2_b32 v[104:105], v73 offset0:14 offset1:149
	;; [unrolled: 1-line block ×4, first 2 shown]
	s_waitcnt vmcnt(0) lgkmcnt(0)
	s_barrier
	ds_write2_b32 v57, v100, v115 offset1:225
	v_mov_b32_e32 v100, 0x2a3
	v_cndmask_b32_e32 v100, 0, v100, vcc
	v_add_lshl_u32 v100, v46, v100, 2
	v_lshrrev_b32_e32 v46, 16, v101
	v_mul_f16_sdwa v115, v46, v48 dst_sel:DWORD dst_unused:UNUSED_PAD src0_sel:DWORD src1_sel:WORD_1
	v_fma_f16 v115, v101, v48, -v115
	v_mul_f16_sdwa v101, v101, v48 dst_sel:DWORD dst_unused:UNUSED_PAD src0_sel:DWORD src1_sel:WORD_1
	v_fma_f16 v46, v46, v48, v101
	v_fma_f16 v101, v112, s1, v102
	;; [unrolled: 1-line block ×3, first 2 shown]
	v_lshrrev_b32_e32 v112, 16, v39
	v_mul_f16_sdwa v113, v39, v47 dst_sel:DWORD dst_unused:UNUSED_PAD src0_sel:DWORD src1_sel:WORD_1
	v_fma_f16 v113, v112, v47, v113
	v_mul_f16_sdwa v112, v112, v47 dst_sel:DWORD dst_unused:UNUSED_PAD src0_sel:DWORD src1_sel:WORD_1
	v_fma_f16 v39, v39, v47, -v112
	v_lshrrev_b32_e32 v114, 16, v106
	v_add_f16_e32 v112, v39, v115
	v_add_f16_e32 v117, v114, v113
	v_fma_f16 v112, v112, -0.5, v106
	v_add_f16_e32 v106, v106, v39
	v_add_f16_e32 v117, v117, v46
	v_sub_f16_e32 v118, v113, v46
	v_add_f16_e32 v46, v113, v46
	v_fma_f16 v46, v46, -0.5, v114
	v_add_f16_e32 v106, v106, v115
	v_sub_f16_e32 v39, v39, v115
	v_pack_b32_f16 v101, v101, v102
	ds_write_b32 v57, v101 offset:1800
	v_pack_b32_f16 v101, v106, v117
	v_fma_f16 v102, v118, s0, v112
	v_fma_f16 v106, v39, s1, v46
	v_pack_b32_f16 v102, v102, v106
	ds_write2_b32 v100, v101, v102 offset1:225
	v_lshrrev_b32_e32 v101, 16, v40
	v_mul_f16_sdwa v102, v101, v49 dst_sel:DWORD dst_unused:UNUSED_PAD src0_sel:DWORD src1_sel:WORD_1
	v_fma_f16 v102, v40, v49, -v102
	v_mul_f16_sdwa v40, v40, v49 dst_sel:DWORD dst_unused:UNUSED_PAD src0_sel:DWORD src1_sel:WORD_1
	v_fma_f16 v39, v39, s0, v46
	v_lshrrev_b32_e32 v46, 16, v107
	v_mul_f16_sdwa v106, v107, v50 dst_sel:DWORD dst_unused:UNUSED_PAD src0_sel:DWORD src1_sel:WORD_1
	v_fma_f16 v40, v101, v49, v40
	v_fma_f16 v101, v118, s1, v112
	v_fma_f16 v106, v46, v50, v106
	v_lshrrev_b32_e32 v112, 16, v104
	v_mul_f16_sdwa v46, v46, v50 dst_sel:DWORD dst_unused:UNUSED_PAD src0_sel:DWORD src1_sel:WORD_1
	v_add_f16_e32 v113, v112, v40
	v_fma_f16 v46, v107, v50, -v46
	v_add_f16_e32 v113, v113, v106
	v_sub_f16_e32 v114, v40, v106
	v_add_f16_e32 v40, v40, v106
	v_add_f16_e32 v106, v104, v102
	;; [unrolled: 1-line block ×3, first 2 shown]
	v_fma_f16 v40, v40, -0.5, v112
	v_add_f16_e32 v106, v106, v46
	v_sub_f16_e32 v46, v102, v46
	v_fma_f16 v102, v107, -0.5, v104
	v_pack_b32_f16 v39, v101, v39
	v_fma_f16 v101, v114, s0, v102
	v_fma_f16 v104, v46, s1, v40
	ds_write_b32 v100, v39 offset:1800
	v_pack_b32_f16 v39, v106, v113
	v_pack_b32_f16 v104, v101, v104
	v_add_u32_e32 v101, 0xb00, v57
	ds_write2_b32 v101, v39, v104 offset0:16 offset1:241
	v_lshrrev_b32_e32 v39, 16, v108
	v_mul_f16_sdwa v106, v108, v52 dst_sel:DWORD dst_unused:UNUSED_PAD src0_sel:DWORD src1_sel:WORD_1
	v_mul_f16_sdwa v104, v39, v52 dst_sel:DWORD dst_unused:UNUSED_PAD src0_sel:DWORD src1_sel:WORD_1
	v_fma_f16 v39, v39, v52, v106
	v_fma_f16 v40, v46, s0, v40
	v_lshrrev_b32_e32 v46, 16, v109
	v_mul_f16_sdwa v106, v109, v51 dst_sel:DWORD dst_unused:UNUSED_PAD src0_sel:DWORD src1_sel:WORD_1
	v_fma_f16 v104, v108, v52, -v104
	v_fma_f16 v106, v46, v51, v106
	v_mul_f16_sdwa v46, v46, v51 dst_sel:DWORD dst_unused:UNUSED_PAD src0_sel:DWORD src1_sel:WORD_1
	v_lshrrev_b32_e32 v108, 16, v105
	v_fma_f16 v46, v109, v51, -v46
	v_add_f16_e32 v109, v108, v106
	v_fma_f16 v102, v114, s1, v102
	v_add_f16_e32 v107, v46, v104
	v_add_f16_e32 v109, v109, v39
	v_sub_f16_e32 v112, v106, v39
	v_add_f16_e32 v39, v106, v39
	v_fma_f16 v107, v107, -0.5, v105
	v_add_f16_e32 v105, v105, v46
	v_fma_f16 v39, v39, -0.5, v108
	v_sub_f16_e32 v46, v46, v104
	v_pack_b32_f16 v40, v102, v40
	v_add_f16_e32 v105, v105, v104
	ds_write_b32 v57, v40 offset:4680
	v_mad_legacy_u16 v40, v44, s16, v56
	v_fma_f16 v56, v112, s0, v107
	v_fma_f16 v102, v46, s1, v39
	v_pack_b32_f16 v44, v105, v109
	v_pack_b32_f16 v56, v56, v102
	v_lshlrev_b32_e32 v102, 2, v40
	ds_write2_b32 v102, v44, v56 offset1:225
	v_lshrrev_b32_e32 v40, 16, v110
	v_mul_f16_sdwa v56, v110, v53 dst_sel:DWORD dst_unused:UNUSED_PAD src0_sel:DWORD src1_sel:WORD_1
	v_mul_f16_sdwa v44, v40, v53 dst_sel:DWORD dst_unused:UNUSED_PAD src0_sel:DWORD src1_sel:WORD_1
	v_fma_f16 v40, v40, v53, v56
	v_lshrrev_b32_e32 v56, 16, v116
	v_mul_f16_sdwa v104, v56, v54 dst_sel:DWORD dst_unused:UNUSED_PAD src0_sel:DWORD src1_sel:WORD_1
	v_fma_f16 v44, v110, v53, -v44
	v_fma_f16 v104, v116, v54, -v104
	v_mul_f16_sdwa v105, v116, v54 dst_sel:DWORD dst_unused:UNUSED_PAD src0_sel:DWORD src1_sel:WORD_1
	v_fma_f16 v56, v56, v54, v105
	v_fma_f16 v39, v46, s0, v39
	v_add_f16_e32 v46, v44, v104
	v_lshrrev_b32_e32 v106, 16, v103
	v_fma_f16 v105, v112, s1, v107
	v_fma_f16 v46, v46, -0.5, v103
	v_add_f16_e32 v103, v103, v44
	v_add_f16_e32 v107, v106, v40
	v_sub_f16_e32 v108, v40, v56
	v_add_f16_e32 v40, v40, v56
	v_add_f16_e32 v107, v107, v56
	v_fma_f16 v40, v40, -0.5, v106
	v_add_f16_e32 v56, v103, v104
	v_sub_f16_e32 v44, v44, v104
	v_pack_b32_f16 v39, v105, v39
	ds_write_b32 v102, v39 offset:1800
	v_pack_b32_f16 v39, v56, v107
	v_fma_f16 v56, v108, s0, v46
	v_fma_f16 v103, v44, s1, v40
	v_pack_b32_f16 v56, v56, v103
	v_lshlrev_b32_e32 v103, 2, v111
	v_add_u32_e32 v104, 0x1500, v103
	ds_write2_b32 v104, v39, v56 offset0:6 offset1:231
	v_fma_f16 v39, v108, s1, v46
	v_fma_f16 v40, v44, s0, v40
	v_pack_b32_f16 v39, v39, v40
	ds_write_b32 v103, v39 offset:7200
	s_waitcnt lgkmcnt(0)
	s_barrier
	global_load_dwordx2 v[39:40], v42, s[2:3] offset:2688
	ds_read2_b32 v[105:106], v78 offset0:70 offset1:205
	global_load_dwordx2 v[45:46], v45, s[2:3] offset:2688
	s_waitcnt lgkmcnt(0)
	v_lshrrev_b32_e32 v56, 16, v105
	global_load_dwordx2 v[41:42], v41, s[2:3] offset:2688
	s_waitcnt vmcnt(2)
	v_mul_f16_sdwa v107, v105, v40 dst_sel:DWORD dst_unused:UNUSED_PAD src0_sel:DWORD src1_sel:WORD_1
	global_load_dwordx2 v[43:44], v43, s[2:3] offset:2688
	v_fma_f16 v109, v56, v40, v107
	v_mul_f16_sdwa v56, v56, v40 dst_sel:DWORD dst_unused:UNUSED_PAD src0_sel:DWORD src1_sel:WORD_1
	ds_read2_b32 v[107:108], v79 offset0:28 offset1:163
	v_fma_f16 v56, v105, v40, -v56
	v_lshrrev_b32_e32 v105, 16, v106
	s_waitcnt vmcnt(1)
	v_mul_f16_sdwa v110, v105, v42 dst_sel:DWORD dst_unused:UNUSED_PAD src0_sel:DWORD src1_sel:WORD_1
	v_fma_f16 v114, v106, v42, -v110
	v_mul_f16_sdwa v106, v106, v42 dst_sel:DWORD dst_unused:UNUSED_PAD src0_sel:DWORD src1_sel:WORD_1
	v_fma_f16 v115, v105, v42, v106
	ds_read2_b32 v[105:106], v57 offset1:135
	s_waitcnt lgkmcnt(1)
	v_lshrrev_b32_e32 v110, 16, v108
	v_mul_f16_sdwa v111, v108, v39 dst_sel:DWORD dst_unused:UNUSED_PAD src0_sel:DWORD src1_sel:WORD_1
	v_fma_f16 v111, v110, v39, v111
	v_mul_f16_sdwa v110, v110, v39 dst_sel:DWORD dst_unused:UNUSED_PAD src0_sel:DWORD src1_sel:WORD_1
	v_fma_f16 v110, v108, v39, -v110
	v_add_f16_e32 v108, v110, v56
	s_waitcnt lgkmcnt(0)
	v_fma_f16 v108, v108, -0.5, v105
	v_sub_f16_e32 v112, v111, v109
	v_fma_f16 v113, v112, s0, v108
	v_fma_f16 v112, v112, s1, v108
	v_lshrrev_b32_e32 v108, 16, v105
	v_add_f16_e32 v116, v108, v111
	v_add_f16_e32 v116, v116, v109
	;; [unrolled: 1-line block ×3, first 2 shown]
	v_fma_f16 v111, v109, -0.5, v108
	ds_read2_b32 v[108:109], v77 offset0:42 offset1:177
	v_add_f16_e32 v105, v105, v110
	v_add_f16_e32 v105, v105, v56
	v_sub_f16_e32 v56, v110, v56
	v_fma_f16 v110, v56, s1, v111
	v_fma_f16 v56, v56, s0, v111
	s_waitcnt lgkmcnt(0)
	v_lshrrev_b32_e32 v111, 16, v108
	v_mul_f16_sdwa v117, v108, v41 dst_sel:DWORD dst_unused:UNUSED_PAD src0_sel:DWORD src1_sel:WORD_1
	v_fma_f16 v117, v111, v41, v117
	v_mul_f16_sdwa v111, v111, v41 dst_sel:DWORD dst_unused:UNUSED_PAD src0_sel:DWORD src1_sel:WORD_1
	v_fma_f16 v108, v108, v41, -v111
	v_add_f16_e32 v111, v108, v114
	v_lshrrev_b32_e32 v119, 16, v106
	v_pack_b32_f16 v116, v105, v116
	v_pack_b32_f16 v105, v113, v110
	v_fma_f16 v118, v111, -0.5, v106
	v_add_f16_e32 v106, v106, v108
	ds_write_b32 v57, v105 offset:2700
	v_pack_b32_f16 v56, v112, v56
	v_add_f16_e32 v105, v119, v117
	ds_write_b32 v57, v56 offset:5400
	v_add_f16_e32 v56, v106, v114
	v_add_f16_e32 v105, v105, v115
	v_pack_b32_f16 v56, v56, v105
	ds_read_b32 v120, v57 offset:7560
	ds_read2_b32 v[105:106], v73 offset0:14 offset1:149
	ds_read2_b32 v[110:111], v70 offset0:84 offset1:219
	;; [unrolled: 1-line block ×3, first 2 shown]
	ds_write2_b32 v57, v116, v56 offset1:135
	v_lshrrev_b32_e32 v56, 16, v109
	v_sub_f16_e32 v108, v108, v114
	s_waitcnt lgkmcnt(3)
	v_lshrrev_b32_e32 v121, 16, v105
	s_waitcnt vmcnt(0)
	v_mul_f16_sdwa v116, v56, v43 dst_sel:DWORD dst_unused:UNUSED_PAD src0_sel:DWORD src1_sel:WORD_1
	v_fma_f16 v116, v109, v43, -v116
	v_mul_f16_sdwa v109, v109, v43 dst_sel:DWORD dst_unused:UNUSED_PAD src0_sel:DWORD src1_sel:WORD_1
	v_fma_f16 v109, v56, v43, v109
	v_sub_f16_e32 v56, v117, v115
	v_add_f16_e32 v115, v117, v115
	v_fma_f16 v115, v115, -0.5, v119
	v_fma_f16 v114, v56, s0, v118
	v_fma_f16 v117, v108, s1, v115
	v_pack_b32_f16 v114, v114, v117
	s_waitcnt lgkmcnt(2)
	v_lshrrev_b32_e32 v117, 16, v110
	v_mul_f16_sdwa v119, v110, v44 dst_sel:DWORD dst_unused:UNUSED_PAD src0_sel:DWORD src1_sel:WORD_1
	v_fma_f16 v119, v117, v44, v119
	v_mul_f16_sdwa v117, v117, v44 dst_sel:DWORD dst_unused:UNUSED_PAD src0_sel:DWORD src1_sel:WORD_1
	v_fma_f16 v110, v110, v44, -v117
	v_add_f16_e32 v117, v116, v110
	v_add_f16_e32 v122, v109, v119
	v_fma_f16 v117, v117, -0.5, v105
	v_fma_f16 v122, v122, -0.5, v121
	v_sub_f16_e32 v123, v109, v119
	v_sub_f16_e32 v125, v116, v110
	v_fma_f16 v124, v123, s0, v117
	v_fma_f16 v126, v125, s1, v122
	v_pack_b32_f16 v124, v124, v126
	ds_write2_b32 v77, v114, v124 offset0:42 offset1:177
	v_fma_f16 v114, v56, s1, v118
	global_load_dwordx2 v[55:56], v55, s[2:3] offset:2688
	v_fma_f16 v108, v108, s0, v115
	v_fma_f16 v115, v123, s1, v117
	;; [unrolled: 1-line block ×3, first 2 shown]
	v_pack_b32_f16 v108, v114, v108
	v_pack_b32_f16 v114, v115, v117
	ds_write2_b32 v81, v108, v114 offset0:77 offset1:212
	v_lshrrev_b32_e32 v108, 16, v111
	v_mul_f16_sdwa v114, v108, v46 dst_sel:DWORD dst_unused:UNUSED_PAD src0_sel:DWORD src1_sel:WORD_1
	v_fma_f16 v114, v111, v46, -v114
	v_mul_f16_sdwa v111, v111, v46 dst_sel:DWORD dst_unused:UNUSED_PAD src0_sel:DWORD src1_sel:WORD_1
	v_add_f16_e32 v105, v105, v116
	v_fma_f16 v108, v108, v46, v111
	v_add_f16_e32 v105, v105, v110
	s_waitcnt lgkmcnt(3)
	v_lshrrev_b32_e32 v110, 16, v112
	v_mul_f16_sdwa v111, v112, v45 dst_sel:DWORD dst_unused:UNUSED_PAD src0_sel:DWORD src1_sel:WORD_1
	v_fma_f16 v111, v110, v45, v111
	v_mul_f16_sdwa v110, v110, v45 dst_sel:DWORD dst_unused:UNUSED_PAD src0_sel:DWORD src1_sel:WORD_1
	v_add_f16_e32 v109, v121, v109
	v_fma_f16 v110, v112, v45, -v110
	v_add_f16_e32 v109, v109, v119
	v_add_f16_e32 v112, v110, v114
	v_lshrrev_b32_e32 v115, 16, v106
	v_fma_f16 v112, v112, -0.5, v106
	v_add_f16_e32 v106, v106, v110
	v_pack_b32_f16 v105, v105, v109
	v_add_f16_e32 v109, v115, v111
	v_add_f16_e32 v106, v106, v114
	;; [unrolled: 1-line block ×3, first 2 shown]
	v_pack_b32_f16 v106, v106, v109
	ds_write2_b32 v73, v105, v106 offset0:14 offset1:149
	v_lshrrev_b32_e32 v105, 16, v113
	v_sub_f16_e32 v110, v110, v114
	v_lshrrev_b32_e32 v114, 16, v107
	s_movk_i32 s2, 0x1fa4
	s_waitcnt vmcnt(0)
	v_mul_f16_sdwa v109, v113, v55 dst_sel:DWORD dst_unused:UNUSED_PAD src0_sel:DWORD src1_sel:WORD_1
	v_mul_f16_sdwa v106, v105, v55 dst_sel:DWORD dst_unused:UNUSED_PAD src0_sel:DWORD src1_sel:WORD_1
	v_fma_f16 v105, v105, v55, v109
	v_lshrrev_b32_e32 v109, 16, v120
	v_mul_f16_sdwa v116, v120, v56 dst_sel:DWORD dst_unused:UNUSED_PAD src0_sel:DWORD src1_sel:WORD_1
	v_fma_f16 v106, v113, v55, -v106
	v_mul_f16_sdwa v113, v109, v56 dst_sel:DWORD dst_unused:UNUSED_PAD src0_sel:DWORD src1_sel:WORD_1
	v_fma_f16 v109, v109, v56, v116
	v_sub_f16_e32 v116, v111, v108
	v_add_f16_e32 v108, v111, v108
	v_fma_f16 v108, v108, -0.5, v115
	v_fma_f16 v113, v120, v56, -v113
	v_fma_f16 v115, v116, s0, v112
	v_fma_f16 v117, v110, s1, v108
	v_add_f16_e32 v111, v106, v113
	v_pack_b32_f16 v115, v115, v117
	v_add_f16_e32 v117, v105, v109
	v_fma_f16 v111, v111, -0.5, v107
	v_add_f16_e32 v107, v107, v106
	v_fma_f16 v117, v117, -0.5, v114
	v_sub_f16_e32 v106, v106, v113
	v_sub_f16_e32 v118, v105, v109
	v_fma_f16 v120, v106, s1, v117
	v_fma_f16 v112, v116, s1, v112
	;; [unrolled: 1-line block ×5, first 2 shown]
	v_pack_b32_f16 v108, v112, v108
	v_pack_b32_f16 v106, v110, v106
	v_add_f16_e32 v105, v114, v105
	v_fma_f16 v119, v118, s0, v111
	ds_write2_b32 v80, v108, v106 offset0:91 offset1:226
	v_add_f16_e32 v106, v107, v113
	v_add_f16_e32 v105, v105, v109
	v_pack_b32_f16 v119, v119, v120
	v_pack_b32_f16 v105, v106, v105
	ds_write2_b32 v66, v115, v119 offset0:56 offset1:191
	ds_write_b32 v57, v105 offset:2160
	s_waitcnt lgkmcnt(0)
	s_barrier
	global_load_dword v105, v[25:26], off offset:4004
	v_add_co_u32_e32 v25, vcc, s2, v82
	v_addc_co_u32_e32 v26, vcc, 0, v83, vcc
	global_load_dword v107, v[25:26], off offset:2700
	global_load_dword v108, v[25:26], off offset:3240
	global_load_dword v109, v[25:26], off offset:540
	global_load_dword v110, v[25:26], off offset:1080
	global_load_dword v111, v[25:26], off offset:3780
	s_movk_i32 s2, 0x3000
	v_add_co_u32_e32 v82, vcc, s2, v82
	v_addc_co_u32_e32 v83, vcc, 0, v83, vcc
	global_load_dword v112, v[82:83], off offset:132
	global_load_dword v113, v[25:26], off offset:1620
	;; [unrolled: 1-line block ×4, first 2 shown]
	ds_read2_b32 v[25:26], v57 offset1:135
	global_load_dword v116, v[82:83], off offset:2292
	global_load_dword v117, v[82:83], off offset:2832
	;; [unrolled: 1-line block ×5, first 2 shown]
	s_mov_b32 s2, 0xc0898b71
	s_mov_b32 s3, 0x3f402e85
	s_waitcnt lgkmcnt(0)
	v_lshrrev_b32_e32 v82, 16, v25
	s_waitcnt vmcnt(14)
	v_mul_f16_sdwa v83, v25, v105 dst_sel:DWORD dst_unused:UNUSED_PAD src0_sel:DWORD src1_sel:WORD_1
	v_fma_f16 v83, v82, v105, v83
	v_mul_f16_sdwa v82, v82, v105 dst_sel:DWORD dst_unused:UNUSED_PAD src0_sel:DWORD src1_sel:WORD_1
	v_fma_f16 v25, v25, v105, -v82
	v_pack_b32_f16 v25, v25, v83
	ds_write_b32 v57, v25
	ds_read2_b32 v[82:83], v79 offset0:28 offset1:163
	ds_read2_b32 v[105:106], v77 offset0:42 offset1:177
	s_waitcnt lgkmcnt(1)
	v_lshrrev_b32_e32 v25, 16, v83
	s_waitcnt vmcnt(13)
	v_mul_f16_sdwa v121, v83, v107 dst_sel:DWORD dst_unused:UNUSED_PAD src0_sel:DWORD src1_sel:WORD_1
	v_fma_f16 v121, v25, v107, v121
	v_mul_f16_sdwa v25, v25, v107 dst_sel:DWORD dst_unused:UNUSED_PAD src0_sel:DWORD src1_sel:WORD_1
	v_fma_f16 v25, v83, v107, -v25
	s_waitcnt lgkmcnt(0)
	v_lshrrev_b32_e32 v83, 16, v105
	s_waitcnt vmcnt(12)
	v_mul_f16_sdwa v107, v105, v108 dst_sel:DWORD dst_unused:UNUSED_PAD src0_sel:DWORD src1_sel:WORD_1
	v_fma_f16 v107, v83, v108, v107
	v_mul_f16_sdwa v83, v83, v108 dst_sel:DWORD dst_unused:UNUSED_PAD src0_sel:DWORD src1_sel:WORD_1
	v_fma_f16 v83, v105, v108, -v83
	v_pack_b32_f16 v25, v25, v121
	v_pack_b32_f16 v83, v83, v107
	v_add_u32_e32 v105, 0xa00, v57
	ds_read2_b32 v[107:108], v73 offset0:14 offset1:149
	ds_write2_b32 v105, v25, v83 offset0:35 offset1:170
	v_lshrrev_b32_e32 v25, 16, v26
	s_waitcnt vmcnt(11)
	v_mul_f16_sdwa v83, v25, v109 dst_sel:DWORD dst_unused:UNUSED_PAD src0_sel:DWORD src1_sel:WORD_1
	v_fma_f16 v83, v26, v109, -v83
	v_mul_f16_sdwa v26, v26, v109 dst_sel:DWORD dst_unused:UNUSED_PAD src0_sel:DWORD src1_sel:WORD_1
	v_fma_f16 v25, v25, v109, v26
	v_pack_b32_f16 v25, v83, v25
	s_waitcnt lgkmcnt(1)
	v_lshrrev_b32_e32 v26, 16, v107
	s_waitcnt vmcnt(10)
	v_mul_f16_sdwa v83, v107, v110 dst_sel:DWORD dst_unused:UNUSED_PAD src0_sel:DWORD src1_sel:WORD_1
	v_fma_f16 v83, v26, v110, v83
	v_mul_f16_sdwa v26, v26, v110 dst_sel:DWORD dst_unused:UNUSED_PAD src0_sel:DWORD src1_sel:WORD_1
	v_fma_f16 v26, v107, v110, -v26
	v_pack_b32_f16 v26, v26, v83
	v_add_u32_e32 v83, 0x200, v57
	ds_write2_b32 v83, v25, v26 offset0:7 offset1:142
	ds_read2_b32 v[25:26], v66 offset0:56 offset1:191
	v_lshrrev_b32_e32 v83, 16, v106
	s_waitcnt vmcnt(9)
	v_mul_f16_sdwa v105, v83, v111 dst_sel:DWORD dst_unused:UNUSED_PAD src0_sel:DWORD src1_sel:WORD_1
	v_fma_f16 v105, v106, v111, -v105
	v_mul_f16_sdwa v106, v106, v111 dst_sel:DWORD dst_unused:UNUSED_PAD src0_sel:DWORD src1_sel:WORD_1
	v_fma_f16 v83, v83, v111, v106
	v_pack_b32_f16 v83, v105, v83
	s_waitcnt lgkmcnt(0)
	v_lshrrev_b32_e32 v105, 16, v25
	s_waitcnt vmcnt(8)
	v_mul_f16_sdwa v106, v25, v112 dst_sel:DWORD dst_unused:UNUSED_PAD src0_sel:DWORD src1_sel:WORD_1
	v_fma_f16 v106, v105, v112, v106
	v_mul_f16_sdwa v105, v105, v112 dst_sel:DWORD dst_unused:UNUSED_PAD src0_sel:DWORD src1_sel:WORD_1
	v_fma_f16 v25, v25, v112, -v105
	v_pack_b32_f16 v25, v25, v106
	v_add_u32_e32 v105, 0xe00, v57
	ds_write2_b32 v105, v83, v25 offset0:49 offset1:184
	v_lshrrev_b32_e32 v25, 16, v108
	s_waitcnt vmcnt(7)
	v_mul_f16_sdwa v105, v108, v113 dst_sel:DWORD dst_unused:UNUSED_PAD src0_sel:DWORD src1_sel:WORD_1
	v_mul_f16_sdwa v83, v25, v113 dst_sel:DWORD dst_unused:UNUSED_PAD src0_sel:DWORD src1_sel:WORD_1
	v_fma_f16 v25, v25, v113, v105
	v_lshrrev_b32_e32 v105, 16, v82
	s_waitcnt vmcnt(6)
	v_mul_f16_sdwa v106, v105, v114 dst_sel:DWORD dst_unused:UNUSED_PAD src0_sel:DWORD src1_sel:WORD_1
	v_fma_f16 v106, v82, v114, -v106
	v_mul_f16_sdwa v82, v82, v114 dst_sel:DWORD dst_unused:UNUSED_PAD src0_sel:DWORD src1_sel:WORD_1
	v_fma_f16 v83, v108, v113, -v83
	v_fma_f16 v82, v105, v114, v82
	v_pack_b32_f16 v25, v83, v25
	v_pack_b32_f16 v82, v106, v82
	v_add_u32_e32 v83, 0x600, v57
	ds_write2_b32 v83, v25, v82 offset0:21 offset1:156
	ds_read2_b32 v[82:83], v78 offset0:70 offset1:205
	v_lshrrev_b32_e32 v25, 16, v26
	s_waitcnt vmcnt(5)
	v_mul_f16_sdwa v105, v25, v115 dst_sel:DWORD dst_unused:UNUSED_PAD src0_sel:DWORD src1_sel:WORD_1
	v_fma_f16 v105, v26, v115, -v105
	v_mul_f16_sdwa v26, v26, v115 dst_sel:DWORD dst_unused:UNUSED_PAD src0_sel:DWORD src1_sel:WORD_1
	v_fma_f16 v25, v25, v115, v26
	s_waitcnt lgkmcnt(0)
	v_lshrrev_b32_e32 v26, 16, v82
	s_waitcnt vmcnt(1)
	v_mul_f16_sdwa v106, v82, v119 dst_sel:DWORD dst_unused:UNUSED_PAD src0_sel:DWORD src1_sel:WORD_1
	v_fma_f16 v106, v26, v119, v106
	v_mul_f16_sdwa v26, v26, v119 dst_sel:DWORD dst_unused:UNUSED_PAD src0_sel:DWORD src1_sel:WORD_1
	v_fma_f16 v26, v82, v119, -v26
	v_pack_b32_f16 v26, v26, v106
	v_pack_b32_f16 v25, v105, v25
	v_add_u32_e32 v82, 0x1200, v57
	ds_write2_b32 v82, v25, v26 offset0:63 offset1:198
	ds_read2_b32 v[25:26], v70 offset0:84 offset1:219
	v_lshrrev_b32_e32 v82, 16, v83
	s_waitcnt vmcnt(0)
	v_mul_f16_sdwa v105, v82, v120 dst_sel:DWORD dst_unused:UNUSED_PAD src0_sel:DWORD src1_sel:WORD_1
	v_fma_f16 v105, v83, v120, -v105
	v_mul_f16_sdwa v83, v83, v120 dst_sel:DWORD dst_unused:UNUSED_PAD src0_sel:DWORD src1_sel:WORD_1
	v_fma_f16 v82, v82, v120, v83
	v_pack_b32_f16 v82, v105, v82
	s_waitcnt lgkmcnt(0)
	v_lshrrev_b32_e32 v83, 16, v25
	v_mul_f16_sdwa v105, v25, v116 dst_sel:DWORD dst_unused:UNUSED_PAD src0_sel:DWORD src1_sel:WORD_1
	v_fma_f16 v105, v83, v116, v105
	v_mul_f16_sdwa v83, v83, v116 dst_sel:DWORD dst_unused:UNUSED_PAD src0_sel:DWORD src1_sel:WORD_1
	v_fma_f16 v25, v25, v116, -v83
	v_pack_b32_f16 v25, v25, v105
	ds_write2_b32 v81, v82, v25 offset0:77 offset1:212
	ds_read_b32 v82, v57 offset:7560
	v_lshrrev_b32_e32 v25, 16, v26
	v_mul_f16_sdwa v83, v25, v117 dst_sel:DWORD dst_unused:UNUSED_PAD src0_sel:DWORD src1_sel:WORD_1
	v_fma_f16 v83, v26, v117, -v83
	v_mul_f16_sdwa v26, v26, v117 dst_sel:DWORD dst_unused:UNUSED_PAD src0_sel:DWORD src1_sel:WORD_1
	v_fma_f16 v25, v25, v117, v26
	s_waitcnt lgkmcnt(0)
	v_lshrrev_b32_e32 v26, 16, v82
	v_mul_f16_sdwa v105, v26, v118 dst_sel:DWORD dst_unused:UNUSED_PAD src0_sel:DWORD src1_sel:WORD_1
	v_fma_f16 v105, v82, v118, -v105
	v_mul_f16_sdwa v82, v82, v118 dst_sel:DWORD dst_unused:UNUSED_PAD src0_sel:DWORD src1_sel:WORD_1
	v_fma_f16 v26, v26, v118, v82
	v_pack_b32_f16 v25, v83, v25
	v_pack_b32_f16 v26, v105, v26
	ds_write2_b32 v80, v25, v26 offset0:91 offset1:226
	s_waitcnt lgkmcnt(0)
	s_barrier
	ds_read2_b32 v[25:26], v78 offset0:70 offset1:205
	ds_read2_b32 v[82:83], v79 offset0:28 offset1:163
	ds_read2_b32 v[105:106], v57 offset1:135
	s_waitcnt lgkmcnt(1)
	v_pk_add_f16 v107, v83, v25
	v_pk_add_f16 v108, v83, v25 neg_lo:[0,1] neg_hi:[0,1]
	s_waitcnt lgkmcnt(0)
	v_pk_fma_f16 v107, v107, 0.5, v105 op_sel_hi:[1,0,1] neg_lo:[1,0,0] neg_hi:[1,0,0]
	v_pk_mul_f16 v108, v108, s0 op_sel_hi:[1,0]
	v_pk_add_f16 v115, v107, v108 op_sel:[0,1] op_sel_hi:[1,0] neg_lo:[0,1] neg_hi:[0,1]
	v_pk_add_f16 v116, v107, v108 op_sel:[0,1] op_sel_hi:[1,0]
	v_pk_add_f16 v83, v105, v83
	v_pk_add_f16 v25, v83, v25
	ds_read_b32 v83, v57 offset:7560
	ds_read2_b32 v[107:108], v77 offset0:42 offset1:177
	ds_read2_b32 v[109:110], v73 offset0:14 offset1:149
	;; [unrolled: 1-line block ×4, first 2 shown]
	v_bfi_b32 v105, s15, v115, v116
	s_waitcnt lgkmcnt(0)
	s_barrier
	ds_write2_b32 v84, v25, v105 offset1:1
	v_bfi_b32 v25, s15, v116, v115
	ds_write_b32 v84, v25 offset:8
	v_pk_add_f16 v84, v106, v107
	v_pk_add_f16 v25, v107, v26
	;; [unrolled: 1-line block ×3, first 2 shown]
	v_pk_add_f16 v26, v107, v26 neg_lo:[0,1] neg_hi:[0,1]
	v_pk_fma_f16 v25, v25, 0.5, v106 op_sel_hi:[1,0,1] neg_lo:[1,0,0] neg_hi:[1,0,0]
	v_pk_mul_f16 v26, v26, s0 op_sel_hi:[1,0]
	v_pk_add_f16 v105, v25, v26 op_sel:[0,1] op_sel_hi:[1,0] neg_lo:[0,1] neg_hi:[0,1]
	v_pk_add_f16 v25, v25, v26 op_sel:[0,1] op_sel_hi:[1,0]
	v_bfi_b32 v26, s15, v105, v25
	ds_write2_b32 v85, v84, v26 offset1:1
	v_pk_add_f16 v26, v108, v111
	v_pk_add_f16 v84, v108, v111 neg_lo:[0,1] neg_hi:[0,1]
	v_bfi_b32 v25, s15, v25, v105
	v_pk_fma_f16 v26, v26, 0.5, v109 op_sel_hi:[1,0,1] neg_lo:[1,0,0] neg_hi:[1,0,0]
	v_pk_mul_f16 v84, v84, s0 op_sel_hi:[1,0]
	ds_write_b32 v85, v25 offset:8
	v_pk_add_f16 v25, v109, v108
	v_pk_add_f16 v85, v26, v84 op_sel:[0,1] op_sel_hi:[1,0] neg_lo:[0,1] neg_hi:[0,1]
	v_pk_add_f16 v26, v26, v84 op_sel:[0,1] op_sel_hi:[1,0]
	v_pk_add_f16 v25, v25, v111
	v_bfi_b32 v84, s15, v85, v26
	ds_write2_b32 v86, v25, v84 offset1:1
	v_bfi_b32 v25, s15, v26, v85
	ds_write_b32 v86, v25 offset:8
	v_pk_add_f16 v25, v113, v112
	v_pk_add_f16 v84, v113, v112 neg_lo:[0,1] neg_hi:[0,1]
	v_pk_fma_f16 v25, v25, 0.5, v110 op_sel_hi:[1,0,1] neg_lo:[1,0,0] neg_hi:[1,0,0]
	v_pk_mul_f16 v84, v84, s0 op_sel_hi:[1,0]
	v_pk_add_f16 v85, v25, v84 op_sel:[0,1] op_sel_hi:[1,0] neg_lo:[0,1] neg_hi:[0,1]
	v_pk_add_f16 v25, v25, v84 op_sel:[0,1] op_sel_hi:[1,0]
	v_pk_add_f16 v26, v110, v113
	v_bfi_b32 v84, s15, v85, v25
	v_bfi_b32 v25, s15, v25, v85
	v_pk_add_f16 v26, v26, v112
	ds_write_b32 v87, v25 offset:8
	v_pk_add_f16 v25, v114, v83
	ds_write2_b32 v87, v26, v84 offset1:1
	v_pk_fma_f16 v25, v25, 0.5, v82 op_sel_hi:[1,0,1] neg_lo:[1,0,0] neg_hi:[1,0,0]
	v_pk_add_f16 v26, v82, v114
	v_pk_add_f16 v82, v114, v83 neg_lo:[0,1] neg_hi:[0,1]
	v_pk_mul_f16 v82, v82, s0 op_sel_hi:[1,0]
	v_pk_add_f16 v26, v26, v83
	v_pk_add_f16 v83, v25, v82 op_sel:[0,1] op_sel_hi:[1,0] neg_lo:[0,1] neg_hi:[0,1]
	v_pk_add_f16 v25, v25, v82 op_sel:[0,1] op_sel_hi:[1,0]
	v_bfi_b32 v82, s15, v83, v25
	v_bfi_b32 v25, s15, v25, v83
	ds_write2_b32 v88, v26, v82 offset1:1
	ds_write_b32 v88, v25 offset:8
	s_waitcnt lgkmcnt(0)
	s_barrier
	ds_read_b32 v82, v57 offset:7560
	ds_read2_b32 v[25:26], v66 offset0:56 offset1:191
	s_waitcnt lgkmcnt(1)
	v_lshrrev_b32_e32 v83, 16, v82
	v_mul_f16_sdwa v84, v36, v83 dst_sel:DWORD dst_unused:UNUSED_PAD src0_sel:WORD_1 src1_sel:DWORD
	v_fma_f16 v84, v36, v82, v84
	v_mul_f16_sdwa v82, v36, v82 dst_sel:DWORD dst_unused:UNUSED_PAD src0_sel:WORD_1 src1_sel:DWORD
	v_fma_f16 v82, v36, v83, -v82
	s_waitcnt lgkmcnt(0)
	v_lshrrev_b32_e32 v36, 16, v26
	v_mul_f16_sdwa v83, v35, v26 dst_sel:DWORD dst_unused:UNUSED_PAD src0_sel:WORD_1 src1_sel:DWORD
	v_fma_f16 v83, v35, v36, -v83
	v_mul_f16_sdwa v36, v35, v36 dst_sel:DWORD dst_unused:UNUSED_PAD src0_sel:WORD_1 src1_sel:DWORD
	v_fma_f16 v85, v35, v26, v36
	ds_read2_b32 v[35:36], v70 offset0:84 offset1:219
	v_lshrrev_b32_e32 v26, 16, v25
	v_mul_f16_sdwa v86, v33, v26 dst_sel:DWORD dst_unused:UNUSED_PAD src0_sel:WORD_1 src1_sel:DWORD
	v_fma_f16 v86, v33, v25, v86
	v_mul_f16_sdwa v25, v33, v25 dst_sel:DWORD dst_unused:UNUSED_PAD src0_sel:WORD_1 src1_sel:DWORD
	v_fma_f16 v33, v33, v26, -v25
	s_waitcnt lgkmcnt(0)
	v_lshrrev_b32_e32 v25, 16, v36
	v_mul_f16_sdwa v26, v34, v36 dst_sel:DWORD dst_unused:UNUSED_PAD src0_sel:WORD_1 src1_sel:DWORD
	v_fma_f16 v87, v34, v25, -v26
	v_mul_f16_sdwa v25, v34, v25 dst_sel:DWORD dst_unused:UNUSED_PAD src0_sel:WORD_1 src1_sel:DWORD
	v_fma_f16 v34, v34, v36, v25
	ds_read2_b32 v[25:26], v77 offset0:42 offset1:177
	;; [unrolled: 12-line block ×3, first 2 shown]
	v_lshrrev_b32_e32 v26, 16, v25
	v_mul_f16_sdwa v106, v29, v26 dst_sel:DWORD dst_unused:UNUSED_PAD src0_sel:WORD_1 src1_sel:DWORD
	v_fma_f16 v106, v29, v25, v106
	v_mul_f16_sdwa v25, v29, v25 dst_sel:DWORD dst_unused:UNUSED_PAD src0_sel:WORD_1 src1_sel:DWORD
	v_fma_f16 v107, v29, v26, -v25
	s_waitcnt lgkmcnt(0)
	v_lshrrev_b32_e32 v25, 16, v32
	v_mul_f16_sdwa v26, v30, v32 dst_sel:DWORD dst_unused:UNUSED_PAD src0_sel:WORD_1 src1_sel:DWORD
	v_fma_f16 v108, v30, v25, -v26
	v_mul_f16_sdwa v25, v30, v25 dst_sel:DWORD dst_unused:UNUSED_PAD src0_sel:WORD_1 src1_sel:DWORD
	v_lshrrev_b32_e32 v29, 16, v31
	v_fma_f16 v30, v30, v32, v25
	ds_read2_b32 v[25:26], v79 offset0:28 offset1:163
	v_mul_f16_sdwa v32, v28, v29 dst_sel:DWORD dst_unused:UNUSED_PAD src0_sel:WORD_1 src1_sel:DWORD
	v_fma_f16 v32, v28, v31, v32
	v_mul_f16_sdwa v31, v28, v31 dst_sel:DWORD dst_unused:UNUSED_PAD src0_sel:WORD_1 src1_sel:DWORD
	v_fma_f16 v31, v28, v29, -v31
	ds_read2_b32 v[28:29], v57 offset1:135
	s_waitcnt lgkmcnt(1)
	v_lshrrev_b32_e32 v109, 16, v26
	v_mul_f16_sdwa v110, v27, v26 dst_sel:DWORD dst_unused:UNUSED_PAD src0_sel:WORD_1 src1_sel:DWORD
	v_fma_f16 v110, v27, v109, -v110
	v_mul_f16_sdwa v109, v27, v109 dst_sel:DWORD dst_unused:UNUSED_PAD src0_sel:WORD_1 src1_sel:DWORD
	v_fma_f16 v26, v27, v26, v109
	s_waitcnt lgkmcnt(0)
	v_lshrrev_b32_e32 v27, 16, v28
	v_add_f16_e32 v109, v27, v110
	v_add_f16_e32 v109, v109, v31
	v_sub_f16_e32 v111, v110, v31
	v_add_f16_e32 v31, v110, v31
	v_fma_f16 v31, v31, -0.5, v27
	v_add_f16_e32 v27, v28, v26
	v_add_f16_e32 v110, v26, v32
	;; [unrolled: 1-line block ×3, first 2 shown]
	v_sub_f16_e32 v32, v26, v32
	v_fma_f16 v28, v110, -0.5, v28
	v_pack_b32_f16 v109, v27, v109
	v_fma_f16 v26, v111, s1, v28
	v_fma_f16 v27, v32, s0, v31
	v_fma_f16 v28, v111, s0, v28
	v_fma_f16 v31, v32, s1, v31
	v_pack_b32_f16 v28, v28, v31
	v_pack_b32_f16 v110, v26, v27
	ds_read2_b32 v[26:27], v73 offset0:14 offset1:149
	s_waitcnt lgkmcnt(0)
	s_barrier
	ds_write_b32 v89, v28 offset:24
	v_add_f16_e32 v28, v106, v30
	v_lshrrev_b32_e32 v31, 16, v29
	ds_write2_b32 v89, v109, v110 offset1:3
	v_fma_f16 v28, v28, -0.5, v29
	v_add_f16_e32 v29, v29, v106
	v_add_f16_e32 v32, v31, v107
	v_sub_f16_e32 v89, v107, v108
	v_add_f16_e32 v107, v107, v108
	v_add_f16_e32 v32, v32, v108
	v_fma_f16 v31, v107, -0.5, v31
	v_add_f16_e32 v29, v29, v30
	v_sub_f16_e32 v30, v106, v30
	v_pack_b32_f16 v29, v29, v32
	v_fma_f16 v32, v89, s1, v28
	v_fma_f16 v106, v30, s0, v31
	v_pack_b32_f16 v32, v32, v106
	ds_write2_b32 v90, v29, v32 offset1:3
	v_fma_f16 v28, v89, s0, v28
	v_fma_f16 v29, v30, s1, v31
	v_pack_b32_f16 v28, v28, v29
	ds_write_b32 v90, v28 offset:24
	v_lshrrev_b32_e32 v28, 16, v26
	v_add_f16_e32 v31, v36, v35
	v_add_f16_e32 v29, v28, v36
	v_fma_f16 v28, v31, -0.5, v28
	v_add_f16_e32 v31, v26, v105
	v_add_f16_e32 v32, v105, v88
	;; [unrolled: 1-line block ×3, first 2 shown]
	v_sub_f16_e32 v30, v36, v35
	v_add_f16_e32 v31, v31, v88
	v_sub_f16_e32 v35, v105, v88
	v_fma_f16 v26, v32, -0.5, v26
	v_pack_b32_f16 v29, v31, v29
	v_fma_f16 v31, v30, s1, v26
	v_fma_f16 v32, v35, s0, v28
	;; [unrolled: 1-line block ×4, first 2 shown]
	v_pack_b32_f16 v26, v26, v28
	v_pack_b32_f16 v31, v31, v32
	ds_write_b32 v91, v26 offset:24
	v_add_f16_e32 v26, v86, v34
	v_lshrrev_b32_e32 v28, 16, v27
	ds_write2_b32 v91, v29, v31 offset1:3
	v_fma_f16 v26, v26, -0.5, v27
	v_add_f16_e32 v27, v27, v86
	v_add_f16_e32 v29, v28, v33
	;; [unrolled: 1-line block ×4, first 2 shown]
	v_sub_f16_e32 v30, v33, v87
	v_fma_f16 v28, v31, -0.5, v28
	v_add_f16_e32 v27, v27, v34
	v_sub_f16_e32 v31, v86, v34
	v_pack_b32_f16 v27, v27, v29
	v_fma_f16 v29, v30, s1, v26
	v_fma_f16 v32, v31, s0, v28
	v_pack_b32_f16 v29, v29, v32
	ds_write2_b32 v92, v27, v29 offset1:3
	v_fma_f16 v26, v30, s0, v26
	v_fma_f16 v27, v31, s1, v28
	v_pack_b32_f16 v26, v26, v27
	ds_write_b32 v92, v26 offset:24
	v_add_f16_e32 v26, v85, v84
	v_lshrrev_b32_e32 v27, 16, v25
	v_fma_f16 v26, v26, -0.5, v25
	v_add_f16_e32 v25, v25, v85
	v_add_f16_e32 v28, v27, v83
	;; [unrolled: 1-line block ×4, first 2 shown]
	v_sub_f16_e32 v29, v83, v82
	v_fma_f16 v27, v30, -0.5, v27
	v_add_f16_e32 v25, v25, v84
	v_sub_f16_e32 v30, v85, v84
	v_pack_b32_f16 v25, v25, v28
	v_fma_f16 v28, v29, s1, v26
	v_fma_f16 v31, v30, s0, v27
	v_pack_b32_f16 v28, v28, v31
	ds_write2_b32 v94, v25, v28 offset1:3
	v_fma_f16 v25, v29, s0, v26
	v_fma_f16 v26, v30, s1, v27
	v_pack_b32_f16 v25, v25, v26
	ds_write_b32 v94, v25 offset:24
	s_waitcnt lgkmcnt(0)
	s_barrier
	ds_read2_b32 v[25:26], v79 offset0:28 offset1:163
	ds_read2_b32 v[27:28], v77 offset0:42 offset1:177
	s_waitcnt lgkmcnt(1)
	v_lshrrev_b32_e32 v29, 16, v25
	v_mul_f16_sdwa v30, v4, v25 dst_sel:DWORD dst_unused:UNUSED_PAD src0_sel:WORD_1 src1_sel:DWORD
	v_fma_f16 v31, v4, v29, -v30
	v_mul_f16_sdwa v29, v4, v29 dst_sel:DWORD dst_unused:UNUSED_PAD src0_sel:WORD_1 src1_sel:DWORD
	v_fma_f16 v25, v4, v25, v29
	s_waitcnt lgkmcnt(0)
	v_lshrrev_b32_e32 v4, 16, v28
	ds_read2_b32 v[29:30], v78 offset0:70 offset1:205
	v_mul_f16_sdwa v32, v5, v28 dst_sel:DWORD dst_unused:UNUSED_PAD src0_sel:WORD_1 src1_sel:DWORD
	v_fma_f16 v32, v5, v4, -v32
	v_mul_f16_sdwa v4, v5, v4 dst_sel:DWORD dst_unused:UNUSED_PAD src0_sel:WORD_1 src1_sel:DWORD
	v_fma_f16 v28, v5, v28, v4
	ds_read2_b32 v[4:5], v70 offset0:84 offset1:219
	s_waitcnt lgkmcnt(1)
	v_lshrrev_b32_e32 v33, 16, v29
	v_mul_f16_sdwa v34, v6, v29 dst_sel:DWORD dst_unused:UNUSED_PAD src0_sel:WORD_1 src1_sel:DWORD
	v_fma_f16 v34, v6, v33, -v34
	v_mul_f16_sdwa v33, v6, v33 dst_sel:DWORD dst_unused:UNUSED_PAD src0_sel:WORD_1 src1_sel:DWORD
	v_fma_f16 v29, v6, v29, v33
	s_waitcnt lgkmcnt(0)
	v_lshrrev_b32_e32 v6, 16, v5
	v_mul_f16_sdwa v33, v7, v5 dst_sel:DWORD dst_unused:UNUSED_PAD src0_sel:WORD_1 src1_sel:DWORD
	v_fma_f16 v33, v7, v6, -v33
	v_mul_f16_sdwa v6, v7, v6 dst_sel:DWORD dst_unused:UNUSED_PAD src0_sel:WORD_1 src1_sel:DWORD
	v_fma_f16 v7, v7, v5, v6
	v_lshrrev_b32_e32 v5, 16, v26
	v_mul_f16_sdwa v6, v16, v5 dst_sel:DWORD dst_unused:UNUSED_PAD src0_sel:WORD_1 src1_sel:DWORD
	v_fma_f16 v35, v16, v26, v6
	v_mul_f16_sdwa v6, v16, v26 dst_sel:DWORD dst_unused:UNUSED_PAD src0_sel:WORD_1 src1_sel:DWORD
	v_fma_f16 v16, v16, v5, -v6
	v_lshrrev_b32_e32 v5, 16, v30
	ds_read_b32 v26, v57 offset:7560
	v_mul_f16_sdwa v6, v18, v5 dst_sel:DWORD dst_unused:UNUSED_PAD src0_sel:WORD_1 src1_sel:DWORD
	v_fma_f16 v36, v18, v30, v6
	v_mul_f16_sdwa v6, v18, v30 dst_sel:DWORD dst_unused:UNUSED_PAD src0_sel:WORD_1 src1_sel:DWORD
	v_fma_f16 v18, v18, v5, -v6
	ds_read2_b32 v[5:6], v66 offset0:56 offset1:191
	s_waitcnt lgkmcnt(1)
	v_lshrrev_b32_e32 v30, 16, v26
	v_mul_f16_sdwa v82, v19, v30 dst_sel:DWORD dst_unused:UNUSED_PAD src0_sel:WORD_1 src1_sel:DWORD
	v_fma_f16 v82, v19, v26, v82
	v_mul_f16_sdwa v26, v19, v26 dst_sel:DWORD dst_unused:UNUSED_PAD src0_sel:WORD_1 src1_sel:DWORD
	v_fma_f16 v19, v19, v30, -v26
	s_waitcnt lgkmcnt(0)
	v_lshrrev_b32_e32 v26, 16, v5
	v_mul_f16_sdwa v30, v17, v5 dst_sel:DWORD dst_unused:UNUSED_PAD src0_sel:WORD_1 src1_sel:DWORD
	v_fma_f16 v30, v17, v26, -v30
	v_mul_f16_sdwa v26, v17, v26 dst_sel:DWORD dst_unused:UNUSED_PAD src0_sel:WORD_1 src1_sel:DWORD
	v_fma_f16 v5, v17, v5, v26
	v_lshrrev_b32_e32 v17, 16, v27
	v_mul_f16_sdwa v26, v1, v17 dst_sel:DWORD dst_unused:UNUSED_PAD src0_sel:WORD_1 src1_sel:DWORD
	v_fma_f16 v26, v1, v27, v26
	v_mul_f16_sdwa v27, v1, v27 dst_sel:DWORD dst_unused:UNUSED_PAD src0_sel:WORD_1 src1_sel:DWORD
	v_fma_f16 v17, v1, v17, -v27
	v_lshrrev_b32_e32 v1, 16, v6
	v_mul_f16_sdwa v27, v2, v1 dst_sel:DWORD dst_unused:UNUSED_PAD src0_sel:WORD_1 src1_sel:DWORD
	v_fma_f16 v27, v2, v6, v27
	v_mul_f16_sdwa v6, v2, v6 dst_sel:DWORD dst_unused:UNUSED_PAD src0_sel:WORD_1 src1_sel:DWORD
	v_fma_f16 v6, v2, v1, -v6
	ds_read2_b32 v[1:2], v73 offset0:14 offset1:149
	v_lshrrev_b32_e32 v83, 16, v4
	v_mul_f16_sdwa v84, v3, v83 dst_sel:DWORD dst_unused:UNUSED_PAD src0_sel:WORD_1 src1_sel:DWORD
	v_fma_f16 v84, v3, v4, v84
	v_mul_f16_sdwa v4, v3, v4 dst_sel:DWORD dst_unused:UNUSED_PAD src0_sel:WORD_1 src1_sel:DWORD
	v_fma_f16 v4, v3, v83, -v4
	s_waitcnt lgkmcnt(0)
	v_lshrrev_b32_e32 v3, 16, v2
	v_mul_f16_sdwa v83, v0, v2 dst_sel:DWORD dst_unused:UNUSED_PAD src0_sel:WORD_1 src1_sel:DWORD
	v_fma_f16 v83, v0, v3, -v83
	v_mul_f16_sdwa v3, v0, v3 dst_sel:DWORD dst_unused:UNUSED_PAD src0_sel:WORD_1 src1_sel:DWORD
	v_fma_f16 v0, v0, v2, v3
	ds_read2_b32 v[2:3], v57 offset1:135
	v_sub_f16_e32 v85, v0, v26
	v_sub_f16_e32 v86, v84, v27
	v_add_f16_e32 v85, v85, v86
	v_sub_f16_e32 v86, v83, v17
	v_sub_f16_e32 v87, v4, v6
	s_waitcnt lgkmcnt(0)
	v_lshrrev_b32_e32 v88, 16, v2
	v_add_f16_e32 v86, v86, v87
	v_add_f16_e32 v87, v2, v0
	v_add_f16_e32 v89, v88, v83
	v_add_f16_e32 v87, v87, v26
	v_add_f16_e32 v89, v89, v17
	v_add_f16_e32 v87, v87, v27
	v_add_f16_e32 v89, v89, v6
	v_add_f16_e32 v87, v87, v84
	v_add_f16_e32 v89, v89, v4
	v_pack_b32_f16 v87, v87, v89
	v_add_f16_e32 v89, v26, v27
	v_sub_f16_e32 v105, v0, v84
	v_sub_f16_e32 v107, v26, v27
	;; [unrolled: 1-line block ×3, first 2 shown]
	v_add_f16_e32 v0, v0, v84
	v_sub_f16_e32 v92, v17, v6
	v_fma_f16 v0, v0, -0.5, v2
	v_fma_f16 v89, v89, -0.5, v2
	v_sub_f16_e32 v90, v83, v4
	v_sub_f16_e32 v27, v27, v84
	v_fma_f16 v2, v92, s6, v0
	v_fma_f16 v0, v92, s13, v0
	v_add_f16_e32 v26, v26, v27
	v_fma_f16 v2, v90, s14, v2
	v_fma_f16 v0, v90, s7, v0
	;; [unrolled: 1-line block ×4, first 2 shown]
	v_add_f16_e32 v26, v83, v4
	v_add_f16_e32 v94, v17, v6
	v_fma_f16 v26, v26, -0.5, v88
	v_sub_f16_e32 v17, v17, v83
	v_sub_f16_e32 v4, v6, v4
	v_add_f16_e32 v4, v17, v4
	v_fma_f16 v6, v107, s13, v26
	v_fma_f16 v17, v107, s6, v26
	;; [unrolled: 1-line block ×6, first 2 shown]
	v_fma_f16 v94, v94, -0.5, v88
	v_pack_b32_f16 v2, v2, v6
	v_pack_b32_f16 v0, v0, v4
	s_barrier
	ds_write2_b32 v93, v2, v0 offset0:18 offset1:27
	v_fma_f16 v0, v90, s6, v89
	v_fma_f16 v2, v105, s13, v94
	;; [unrolled: 1-line block ×6, first 2 shown]
	v_pack_b32_f16 v0, v0, v2
	v_sub_f16_e32 v6, v25, v28
	v_sub_f16_e32 v17, v7, v29
	ds_write_b32 v93, v0 offset:144
	v_add_f16_e32 v0, v28, v29
	v_add_f16_e32 v2, v25, v7
	v_lshrrev_b32_e32 v4, 16, v3
	v_add_f16_e32 v6, v6, v17
	v_sub_f16_e32 v17, v31, v32
	v_sub_f16_e32 v26, v33, v34
	v_fma_f16 v0, v0, -0.5, v3
	v_fma_f16 v2, v2, -0.5, v3
	v_add_f16_e32 v3, v3, v25
	v_add_f16_e32 v17, v17, v26
	;; [unrolled: 1-line block ×3, first 2 shown]
	v_fma_f16 v91, v90, s13, v89
	v_fma_f16 v106, v105, s6, v94
	v_add_f16_e32 v3, v3, v28
	v_add_f16_e32 v26, v26, v32
	v_fma_f16 v91, v92, s14, v91
	v_fma_f16 v106, v107, s7, v106
	v_add_f16_e32 v3, v3, v29
	v_add_f16_e32 v26, v26, v34
	;; [unrolled: 4-line block ×3, first 2 shown]
	v_add_f16_e32 v84, v32, v34
	v_pack_b32_f16 v91, v91, v106
	v_pack_b32_f16 v3, v3, v26
	v_sub_f16_e32 v26, v31, v33
	v_fma_f16 v84, v84, -0.5, v4
	v_sub_f16_e32 v85, v25, v7
	ds_write2_b32 v93, v87, v91 offset1:9
	v_fma_f16 v27, v26, s13, v0
	v_sub_f16_e32 v83, v32, v34
	v_fma_f16 v86, v85, s6, v84
	v_sub_f16_e32 v87, v28, v29
	v_fma_f16 v27, v83, s14, v27
	v_fma_f16 v86, v87, s7, v86
	;; [unrolled: 1-line block ×4, first 2 shown]
	v_pack_b32_f16 v27, v27, v86
	ds_write2_b32 v95, v3, v27 offset1:9
	v_sub_f16_e32 v3, v28, v25
	v_sub_f16_e32 v7, v29, v7
	v_add_f16_e32 v3, v3, v7
	v_fma_f16 v7, v83, s6, v2
	v_fma_f16 v2, v83, s13, v2
	;; [unrolled: 1-line block ×6, first 2 shown]
	v_add_f16_e32 v3, v31, v33
	v_fma_f16 v3, v3, -0.5, v4
	v_sub_f16_e32 v4, v32, v31
	v_sub_f16_e32 v25, v34, v33
	v_add_f16_e32 v4, v4, v25
	v_fma_f16 v25, v87, s13, v3
	v_fma_f16 v3, v87, s6, v3
	;; [unrolled: 1-line block ×6, first 2 shown]
	v_pack_b32_f16 v4, v7, v25
	v_pack_b32_f16 v2, v2, v3
	ds_write2_b32 v95, v4, v2 offset0:18 offset1:27
	v_fma_f16 v0, v26, s6, v0
	v_fma_f16 v2, v85, s13, v84
	;; [unrolled: 1-line block ×6, first 2 shown]
	v_pack_b32_f16 v0, v0, v2
	v_sub_f16_e32 v4, v35, v5
	v_sub_f16_e32 v6, v82, v36
	ds_write_b32 v95, v0 offset:144
	v_add_f16_e32 v0, v5, v36
	v_add_f16_e32 v2, v35, v82
	v_lshrrev_b32_e32 v3, 16, v1
	v_add_f16_e32 v4, v4, v6
	v_sub_f16_e32 v6, v16, v30
	v_sub_f16_e32 v7, v19, v18
	v_fma_f16 v0, v0, -0.5, v1
	v_fma_f16 v2, v2, -0.5, v1
	v_add_f16_e32 v1, v1, v35
	v_add_f16_e32 v6, v6, v7
	;; [unrolled: 1-line block ×10, first 2 shown]
	v_pack_b32_f16 v1, v1, v7
	v_sub_f16_e32 v7, v16, v19
	v_fma_f16 v26, v26, -0.5, v3
	v_sub_f16_e32 v27, v35, v82
	v_fma_f16 v17, v7, s13, v0
	v_sub_f16_e32 v25, v30, v18
	v_fma_f16 v28, v27, s6, v26
	;; [unrolled: 2-line block ×3, first 2 shown]
	v_fma_f16 v28, v29, s7, v28
	v_fma_f16 v17, v4, s12, v17
	v_fma_f16 v28, v6, s12, v28
	v_pack_b32_f16 v17, v17, v28
	ds_write2_b32 v97, v1, v17 offset1:9
	v_sub_f16_e32 v1, v5, v35
	v_sub_f16_e32 v5, v36, v82
	v_add_f16_e32 v1, v1, v5
	v_fma_f16 v5, v25, s6, v2
	v_fma_f16 v2, v25, s13, v2
	;; [unrolled: 1-line block ×6, first 2 shown]
	v_add_f16_e32 v2, v16, v19
	v_fma_f16 v2, v2, -0.5, v3
	v_sub_f16_e32 v3, v30, v16
	v_sub_f16_e32 v16, v18, v19
	v_add_f16_e32 v3, v3, v16
	v_fma_f16 v16, v29, s13, v2
	v_fma_f16 v2, v29, s6, v2
	;; [unrolled: 1-line block ×6, first 2 shown]
	v_pack_b32_f16 v3, v5, v16
	v_pack_b32_f16 v1, v1, v2
	ds_write2_b32 v97, v3, v1 offset0:18 offset1:27
	v_fma_f16 v0, v7, s6, v0
	v_fma_f16 v1, v27, s13, v26
	;; [unrolled: 1-line block ×6, first 2 shown]
	v_pack_b32_f16 v0, v0, v1
	ds_write_b32 v97, v0 offset:144
	s_waitcnt lgkmcnt(0)
	s_barrier
	ds_read2_b32 v[0:1], v79 offset0:28 offset1:163
	ds_read2_b32 v[2:3], v77 offset0:42 offset1:177
	ds_read_b32 v19, v57 offset:7560
	s_waitcnt lgkmcnt(2)
	v_lshrrev_b32_e32 v4, 16, v0
	v_mul_f16_sdwa v5, v12, v0 dst_sel:DWORD dst_unused:UNUSED_PAD src0_sel:WORD_1 src1_sel:DWORD
	v_fma_f16 v16, v12, v4, -v5
	v_mul_f16_sdwa v4, v12, v4 dst_sel:DWORD dst_unused:UNUSED_PAD src0_sel:WORD_1 src1_sel:DWORD
	v_fma_f16 v12, v12, v0, v4
	ds_read2_b32 v[4:5], v78 offset0:70 offset1:205
	s_waitcnt lgkmcnt(2)
	v_lshrrev_b32_e32 v0, 16, v3
	v_mul_f16_sdwa v6, v13, v3 dst_sel:DWORD dst_unused:UNUSED_PAD src0_sel:WORD_1 src1_sel:DWORD
	v_fma_f16 v17, v13, v0, -v6
	ds_read2_b32 v[6:7], v70 offset0:84 offset1:219
	v_mul_f16_sdwa v0, v13, v0 dst_sel:DWORD dst_unused:UNUSED_PAD src0_sel:WORD_1 src1_sel:DWORD
	v_fma_f16 v3, v13, v3, v0
	s_waitcnt lgkmcnt(1)
	v_lshrrev_b32_e32 v0, 16, v4
	v_mul_f16_sdwa v13, v14, v4 dst_sel:DWORD dst_unused:UNUSED_PAD src0_sel:WORD_1 src1_sel:DWORD
	v_fma_f16 v13, v14, v0, -v13
	v_mul_f16_sdwa v0, v14, v0 dst_sel:DWORD dst_unused:UNUSED_PAD src0_sel:WORD_1 src1_sel:DWORD
	v_fma_f16 v4, v14, v4, v0
	s_waitcnt lgkmcnt(0)
	v_lshrrev_b32_e32 v0, 16, v7
	v_mul_f16_sdwa v14, v15, v7 dst_sel:DWORD dst_unused:UNUSED_PAD src0_sel:WORD_1 src1_sel:DWORD
	v_fma_f16 v14, v15, v0, -v14
	v_mul_f16_sdwa v0, v15, v0 dst_sel:DWORD dst_unused:UNUSED_PAD src0_sel:WORD_1 src1_sel:DWORD
	v_fma_f16 v7, v15, v7, v0
	v_lshrrev_b32_e32 v0, 16, v1
	v_mul_f16_sdwa v15, v20, v0 dst_sel:DWORD dst_unused:UNUSED_PAD src0_sel:WORD_1 src1_sel:DWORD
	v_fma_f16 v15, v20, v1, v15
	v_mul_f16_sdwa v1, v20, v1 dst_sel:DWORD dst_unused:UNUSED_PAD src0_sel:WORD_1 src1_sel:DWORD
	v_fma_f16 v18, v20, v0, -v1
	v_lshrrev_b32_e32 v0, 16, v5
	v_mul_f16_sdwa v1, v22, v0 dst_sel:DWORD dst_unused:UNUSED_PAD src0_sel:WORD_1 src1_sel:DWORD
	v_fma_f16 v20, v22, v5, v1
	v_mul_f16_sdwa v1, v22, v5 dst_sel:DWORD dst_unused:UNUSED_PAD src0_sel:WORD_1 src1_sel:DWORD
	v_fma_f16 v5, v22, v0, -v1
	ds_read2_b32 v[0:1], v66 offset0:56 offset1:191
	v_lshrrev_b32_e32 v22, 16, v19
	v_mul_f16_sdwa v25, v23, v22 dst_sel:DWORD dst_unused:UNUSED_PAD src0_sel:WORD_1 src1_sel:DWORD
	v_fma_f16 v25, v23, v19, v25
	v_mul_f16_sdwa v19, v23, v19 dst_sel:DWORD dst_unused:UNUSED_PAD src0_sel:WORD_1 src1_sel:DWORD
	v_fma_f16 v19, v23, v22, -v19
	s_waitcnt lgkmcnt(0)
	v_lshrrev_b32_e32 v22, 16, v0
	v_mul_f16_sdwa v23, v21, v0 dst_sel:DWORD dst_unused:UNUSED_PAD src0_sel:WORD_1 src1_sel:DWORD
	v_fma_f16 v23, v21, v22, -v23
	v_mul_f16_sdwa v22, v21, v22 dst_sel:DWORD dst_unused:UNUSED_PAD src0_sel:WORD_1 src1_sel:DWORD
	v_fma_f16 v21, v21, v0, v22
	v_lshrrev_b32_e32 v0, 16, v2
	v_mul_f16_sdwa v22, v9, v0 dst_sel:DWORD dst_unused:UNUSED_PAD src0_sel:WORD_1 src1_sel:DWORD
	v_fma_f16 v22, v9, v2, v22
	v_mul_f16_sdwa v2, v9, v2 dst_sel:DWORD dst_unused:UNUSED_PAD src0_sel:WORD_1 src1_sel:DWORD
	v_fma_f16 v9, v9, v0, -v2
	v_lshrrev_b32_e32 v0, 16, v1
	v_mul_f16_sdwa v2, v10, v0 dst_sel:DWORD dst_unused:UNUSED_PAD src0_sel:WORD_1 src1_sel:DWORD
	v_fma_f16 v26, v10, v1, v2
	v_mul_f16_sdwa v1, v10, v1 dst_sel:DWORD dst_unused:UNUSED_PAD src0_sel:WORD_1 src1_sel:DWORD
	v_fma_f16 v10, v10, v0, -v1
	ds_read2_b32 v[0:1], v73 offset0:14 offset1:149
	v_lshrrev_b32_e32 v2, 16, v6
	v_mul_f16_sdwa v27, v11, v2 dst_sel:DWORD dst_unused:UNUSED_PAD src0_sel:WORD_1 src1_sel:DWORD
	v_fma_f16 v27, v11, v6, v27
	v_mul_f16_sdwa v6, v11, v6 dst_sel:DWORD dst_unused:UNUSED_PAD src0_sel:WORD_1 src1_sel:DWORD
	v_fma_f16 v6, v11, v2, -v6
	s_waitcnt lgkmcnt(0)
	v_lshrrev_b32_e32 v2, 16, v1
	v_mul_f16_sdwa v11, v8, v1 dst_sel:DWORD dst_unused:UNUSED_PAD src0_sel:WORD_1 src1_sel:DWORD
	v_fma_f16 v11, v8, v2, -v11
	v_mul_f16_sdwa v2, v8, v2 dst_sel:DWORD dst_unused:UNUSED_PAD src0_sel:WORD_1 src1_sel:DWORD
	v_fma_f16 v8, v8, v1, v2
	ds_read2_b32 v[1:2], v57 offset1:135
	v_sub_f16_e32 v28, v8, v22
	v_sub_f16_e32 v29, v27, v26
	v_add_f16_e32 v28, v28, v29
	v_sub_f16_e32 v29, v11, v9
	v_sub_f16_e32 v30, v6, v10
	s_waitcnt lgkmcnt(0)
	v_lshrrev_b32_e32 v31, 16, v1
	v_add_f16_e32 v29, v29, v30
	v_add_f16_e32 v30, v1, v8
	;; [unrolled: 1-line block ×9, first 2 shown]
	v_pack_b32_f16 v30, v30, v32
	v_add_f16_e32 v32, v22, v26
	v_sub_f16_e32 v82, v8, v27
	v_sub_f16_e32 v84, v22, v26
	v_sub_f16_e32 v22, v22, v8
	v_add_f16_e32 v8, v8, v27
	v_fma_f16 v32, v32, -0.5, v1
	v_sub_f16_e32 v35, v9, v10
	v_fma_f16 v1, v8, -0.5, v1
	v_sub_f16_e32 v33, v11, v6
	v_sub_f16_e32 v26, v26, v27
	v_fma_f16 v8, v35, s6, v1
	v_fma_f16 v1, v35, s13, v1
	v_add_f16_e32 v22, v22, v26
	v_fma_f16 v8, v33, s14, v8
	v_fma_f16 v1, v33, s7, v1
	;; [unrolled: 1-line block ×4, first 2 shown]
	v_add_f16_e32 v22, v11, v6
	v_add_f16_e32 v36, v9, v10
	v_fma_f16 v22, v22, -0.5, v31
	v_sub_f16_e32 v9, v9, v11
	v_sub_f16_e32 v6, v10, v6
	v_add_f16_e32 v6, v9, v6
	v_fma_f16 v9, v84, s13, v22
	v_fma_f16 v10, v84, s6, v22
	;; [unrolled: 1-line block ×6, first 2 shown]
	v_fma_f16 v36, v36, -0.5, v31
	v_pack_b32_f16 v8, v8, v9
	v_pack_b32_f16 v1, v1, v6
	s_barrier
	ds_write2_b32 v96, v8, v1 offset0:90 offset1:135
	v_fma_f16 v1, v33, s6, v32
	v_fma_f16 v6, v82, s13, v36
	v_fma_f16 v1, v35, s7, v1
	v_fma_f16 v6, v84, s14, v6
	v_fma_f16 v1, v28, s12, v1
	v_fma_f16 v6, v29, s12, v6
	v_pack_b32_f16 v1, v1, v6
	v_sub_f16_e32 v9, v12, v3
	v_sub_f16_e32 v10, v7, v4
	ds_write_b32 v96, v1 offset:720
	v_add_f16_e32 v1, v3, v4
	v_add_f16_e32 v6, v12, v7
	v_lshrrev_b32_e32 v8, 16, v2
	v_add_f16_e32 v9, v9, v10
	v_sub_f16_e32 v10, v16, v17
	v_sub_f16_e32 v11, v14, v13
	v_fma_f16 v1, v1, -0.5, v2
	v_fma_f16 v6, v6, -0.5, v2
	v_add_f16_e32 v2, v2, v12
	v_add_f16_e32 v10, v10, v11
	;; [unrolled: 1-line block ×3, first 2 shown]
	v_fma_f16 v34, v33, s13, v32
	v_fma_f16 v83, v82, s6, v36
	v_add_f16_e32 v2, v2, v3
	v_add_f16_e32 v11, v11, v17
	v_fma_f16 v34, v35, s14, v34
	v_fma_f16 v83, v84, s7, v83
	v_add_f16_e32 v2, v2, v4
	v_add_f16_e32 v11, v11, v13
	;; [unrolled: 4-line block ×3, first 2 shown]
	v_add_f16_e32 v27, v17, v13
	v_pack_b32_f16 v34, v34, v83
	v_pack_b32_f16 v2, v2, v11
	v_sub_f16_e32 v11, v16, v14
	v_fma_f16 v27, v27, -0.5, v8
	v_sub_f16_e32 v28, v12, v7
	ds_write2_b32 v96, v30, v34 offset1:45
	v_fma_f16 v22, v11, s13, v1
	v_sub_f16_e32 v26, v17, v13
	v_fma_f16 v29, v28, s6, v27
	v_sub_f16_e32 v30, v3, v4
	v_fma_f16 v22, v26, s14, v22
	v_fma_f16 v29, v30, s7, v29
	;; [unrolled: 1-line block ×4, first 2 shown]
	v_pack_b32_f16 v22, v22, v29
	ds_write2_b32 v98, v2, v22 offset1:45
	v_sub_f16_e32 v2, v3, v12
	v_sub_f16_e32 v3, v4, v7
	v_add_f16_e32 v2, v2, v3
	v_fma_f16 v3, v26, s6, v6
	v_fma_f16 v4, v26, s13, v6
	;; [unrolled: 1-line block ×6, first 2 shown]
	v_add_f16_e32 v4, v16, v14
	v_fma_f16 v4, v4, -0.5, v8
	v_sub_f16_e32 v6, v17, v16
	v_sub_f16_e32 v7, v13, v14
	v_add_f16_e32 v6, v6, v7
	v_fma_f16 v7, v30, s13, v4
	v_fma_f16 v4, v30, s6, v4
	;; [unrolled: 1-line block ×6, first 2 shown]
	v_pack_b32_f16 v3, v3, v7
	v_pack_b32_f16 v2, v2, v4
	ds_write2_b32 v98, v3, v2 offset0:90 offset1:135
	v_fma_f16 v1, v11, s6, v1
	v_fma_f16 v2, v28, s13, v27
	;; [unrolled: 1-line block ×6, first 2 shown]
	v_pack_b32_f16 v1, v1, v2
	v_sub_f16_e32 v4, v15, v21
	v_sub_f16_e32 v6, v25, v20
	ds_write_b32 v98, v1 offset:720
	v_add_f16_e32 v1, v21, v20
	v_add_f16_e32 v2, v15, v25
	v_lshrrev_b32_e32 v3, 16, v0
	v_add_f16_e32 v4, v4, v6
	v_sub_f16_e32 v6, v18, v23
	v_sub_f16_e32 v7, v19, v5
	v_fma_f16 v1, v1, -0.5, v0
	v_fma_f16 v2, v2, -0.5, v0
	v_add_f16_e32 v0, v0, v15
	v_add_f16_e32 v6, v6, v7
	;; [unrolled: 1-line block ×10, first 2 shown]
	v_pack_b32_f16 v0, v0, v7
	v_sub_f16_e32 v7, v18, v19
	v_fma_f16 v10, v10, -0.5, v3
	v_sub_f16_e32 v11, v15, v25
	v_fma_f16 v8, v7, s13, v1
	v_sub_f16_e32 v9, v23, v5
	v_fma_f16 v12, v11, s6, v10
	;; [unrolled: 2-line block ×3, first 2 shown]
	v_fma_f16 v12, v13, s7, v12
	v_fma_f16 v8, v4, s12, v8
	;; [unrolled: 1-line block ×3, first 2 shown]
	v_pack_b32_f16 v8, v8, v12
	ds_write2_b32 v99, v0, v8 offset1:45
	v_sub_f16_e32 v0, v21, v15
	v_sub_f16_e32 v8, v20, v25
	v_add_f16_e32 v0, v0, v8
	v_fma_f16 v8, v9, s6, v2
	v_fma_f16 v2, v9, s13, v2
	;; [unrolled: 1-line block ×6, first 2 shown]
	v_add_f16_e32 v2, v18, v19
	v_fma_f16 v2, v2, -0.5, v3
	v_sub_f16_e32 v3, v23, v18
	v_sub_f16_e32 v5, v5, v19
	v_add_f16_e32 v3, v3, v5
	v_fma_f16 v5, v13, s13, v2
	v_fma_f16 v2, v13, s6, v2
	;; [unrolled: 1-line block ×6, first 2 shown]
	v_pack_b32_f16 v3, v8, v5
	v_pack_b32_f16 v0, v0, v2
	ds_write2_b32 v99, v3, v0 offset0:90 offset1:135
	v_fma_f16 v0, v7, s6, v1
	v_fma_f16 v1, v11, s13, v10
	;; [unrolled: 1-line block ×6, first 2 shown]
	v_pack_b32_f16 v0, v0, v1
	ds_write_b32 v99, v0 offset:720
	s_waitcnt lgkmcnt(0)
	s_barrier
	ds_read_b32 v2, v57 offset:7560
	ds_read2_b32 v[0:1], v66 offset0:56 offset1:191
	s_movk_i32 s6, 0x1ff
	s_movk_i32 s7, 0xffe
	s_waitcnt lgkmcnt(1)
	v_lshrrev_b32_e32 v3, 16, v2
	v_mul_f16_sdwa v4, v54, v3 dst_sel:DWORD dst_unused:UNUSED_PAD src0_sel:WORD_1 src1_sel:DWORD
	v_fma_f16 v5, v54, v2, v4
	v_mul_f16_sdwa v2, v54, v2 dst_sel:DWORD dst_unused:UNUSED_PAD src0_sel:WORD_1 src1_sel:DWORD
	v_fma_f16 v6, v54, v3, -v2
	s_waitcnt lgkmcnt(0)
	v_lshrrev_b32_e32 v2, 16, v1
	v_mul_f16_sdwa v3, v53, v1 dst_sel:DWORD dst_unused:UNUSED_PAD src0_sel:WORD_1 src1_sel:DWORD
	v_fma_f16 v7, v53, v2, -v3
	v_mul_f16_sdwa v2, v53, v2 dst_sel:DWORD dst_unused:UNUSED_PAD src0_sel:WORD_1 src1_sel:DWORD
	v_fma_f16 v8, v53, v1, v2
	ds_read2_b32 v[1:2], v70 offset0:84 offset1:219
	v_lshrrev_b32_e32 v3, 16, v0
	v_mul_f16_sdwa v4, v51, v3 dst_sel:DWORD dst_unused:UNUSED_PAD src0_sel:WORD_1 src1_sel:DWORD
	v_fma_f16 v9, v51, v0, v4
	v_mul_f16_sdwa v0, v51, v0 dst_sel:DWORD dst_unused:UNUSED_PAD src0_sel:WORD_1 src1_sel:DWORD
	v_fma_f16 v10, v51, v3, -v0
	s_waitcnt lgkmcnt(0)
	v_lshrrev_b32_e32 v0, 16, v2
	v_mul_f16_sdwa v3, v52, v2 dst_sel:DWORD dst_unused:UNUSED_PAD src0_sel:WORD_1 src1_sel:DWORD
	v_fma_f16 v11, v52, v0, -v3
	v_mul_f16_sdwa v0, v52, v0 dst_sel:DWORD dst_unused:UNUSED_PAD src0_sel:WORD_1 src1_sel:DWORD
	v_fma_f16 v12, v52, v2, v0
	ds_read2_b32 v[2:3], v77 offset0:42 offset1:177
	;; [unrolled: 12-line block ×3, first 2 shown]
	v_lshrrev_b32_e32 v3, 16, v2
	v_mul_f16_sdwa v4, v47, v3 dst_sel:DWORD dst_unused:UNUSED_PAD src0_sel:WORD_1 src1_sel:DWORD
	v_fma_f16 v17, v47, v2, v4
	v_mul_f16_sdwa v2, v47, v2 dst_sel:DWORD dst_unused:UNUSED_PAD src0_sel:WORD_1 src1_sel:DWORD
	v_fma_f16 v18, v47, v3, -v2
	s_waitcnt lgkmcnt(0)
	v_lshrrev_b32_e32 v2, 16, v1
	v_mul_f16_sdwa v3, v48, v1 dst_sel:DWORD dst_unused:UNUSED_PAD src0_sel:WORD_1 src1_sel:DWORD
	v_fma_f16 v19, v48, v2, -v3
	v_mul_f16_sdwa v2, v48, v2 dst_sel:DWORD dst_unused:UNUSED_PAD src0_sel:WORD_1 src1_sel:DWORD
	v_lshrrev_b32_e32 v3, 16, v0
	v_fma_f16 v20, v48, v1, v2
	ds_read2_b32 v[1:2], v79 offset0:28 offset1:163
	v_mul_f16_sdwa v4, v38, v3 dst_sel:DWORD dst_unused:UNUSED_PAD src0_sel:WORD_1 src1_sel:DWORD
	v_fma_f16 v21, v38, v0, v4
	v_mul_f16_sdwa v0, v38, v0 dst_sel:DWORD dst_unused:UNUSED_PAD src0_sel:WORD_1 src1_sel:DWORD
	v_fma_f16 v0, v38, v3, -v0
	ds_read2_b32 v[3:4], v57 offset1:135
	s_waitcnt lgkmcnt(1)
	v_lshrrev_b32_e32 v22, 16, v2
	v_mul_f16_sdwa v23, v37, v2 dst_sel:DWORD dst_unused:UNUSED_PAD src0_sel:WORD_1 src1_sel:DWORD
	v_fma_f16 v23, v37, v22, -v23
	v_mul_f16_sdwa v22, v37, v22 dst_sel:DWORD dst_unused:UNUSED_PAD src0_sel:WORD_1 src1_sel:DWORD
	v_fma_f16 v2, v37, v2, v22
	s_waitcnt lgkmcnt(0)
	v_lshrrev_b32_e32 v22, 16, v3
	v_add_f16_e32 v25, v22, v23
	v_add_f16_e32 v25, v25, v0
	v_sub_f16_e32 v26, v23, v0
	v_add_f16_e32 v0, v23, v0
	v_fma_f16 v0, v0, -0.5, v22
	v_add_f16_e32 v22, v3, v2
	v_add_f16_e32 v23, v2, v21
	;; [unrolled: 1-line block ×3, first 2 shown]
	v_sub_f16_e32 v21, v2, v21
	v_fma_f16 v23, v23, -0.5, v3
	v_fma_f16 v2, v26, s1, v23
	v_fma_f16 v3, v21, s0, v0
	v_pack_b32_f16 v22, v22, v25
	v_pack_b32_f16 v25, v2, v3
	ds_read2_b32 v[2:3], v73 offset0:14 offset1:149
	s_waitcnt lgkmcnt(0)
	s_barrier
	ds_write2_b32 v57, v22, v25 offset1:225
	v_fma_f16 v22, v26, s0, v23
	v_fma_f16 v0, v21, s1, v0
	v_add_f16_e32 v21, v17, v20
	v_lshrrev_b32_e32 v23, 16, v4
	v_fma_f16 v21, v21, -0.5, v4
	v_add_f16_e32 v4, v4, v17
	v_add_f16_e32 v25, v23, v18
	v_sub_f16_e32 v26, v18, v19
	v_add_f16_e32 v18, v18, v19
	v_add_f16_e32 v25, v25, v19
	v_fma_f16 v18, v18, -0.5, v23
	v_add_f16_e32 v4, v4, v20
	v_sub_f16_e32 v17, v17, v20
	v_pack_b32_f16 v0, v22, v0
	ds_write_b32 v57, v0 offset:1800
	v_pack_b32_f16 v0, v4, v25
	v_fma_f16 v4, v26, s1, v21
	v_fma_f16 v19, v17, s0, v18
	v_pack_b32_f16 v4, v4, v19
	ds_write2_b32 v100, v0, v4 offset1:225
	v_fma_f16 v0, v26, s0, v21
	v_fma_f16 v4, v17, s1, v18
	v_pack_b32_f16 v0, v0, v4
	ds_write_b32 v100, v0 offset:1800
	v_lshrrev_b32_e32 v0, 16, v2
	v_add_f16_e32 v4, v0, v15
	v_add_f16_e32 v4, v4, v14
	v_sub_f16_e32 v17, v15, v14
	v_add_f16_e32 v14, v15, v14
	v_fma_f16 v0, v14, -0.5, v0
	v_add_f16_e32 v14, v2, v16
	v_add_f16_e32 v15, v16, v13
	;; [unrolled: 1-line block ×3, first 2 shown]
	v_sub_f16_e32 v13, v16, v13
	v_fma_f16 v2, v15, -0.5, v2
	v_pack_b32_f16 v4, v14, v4
	v_fma_f16 v14, v17, s1, v2
	v_fma_f16 v15, v13, s0, v0
	v_pack_b32_f16 v14, v14, v15
	ds_write2_b32 v101, v4, v14 offset0:16 offset1:241
	v_fma_f16 v0, v13, s1, v0
	v_add_f16_e32 v4, v9, v12
	v_lshrrev_b32_e32 v13, 16, v3
	v_fma_f16 v2, v17, s0, v2
	v_fma_f16 v4, v4, -0.5, v3
	v_add_f16_e32 v3, v3, v9
	v_add_f16_e32 v14, v13, v10
	v_sub_f16_e32 v15, v10, v11
	v_add_f16_e32 v10, v10, v11
	v_add_f16_e32 v14, v14, v11
	v_fma_f16 v10, v10, -0.5, v13
	v_add_f16_e32 v3, v3, v12
	v_sub_f16_e32 v9, v9, v12
	v_pack_b32_f16 v0, v2, v0
	ds_write_b32 v57, v0 offset:4680
	v_pack_b32_f16 v0, v3, v14
	v_fma_f16 v2, v15, s1, v4
	v_fma_f16 v3, v9, s0, v10
	v_pack_b32_f16 v2, v2, v3
	ds_write2_b32 v102, v0, v2 offset1:225
	v_fma_f16 v0, v15, s0, v4
	v_fma_f16 v2, v9, s1, v10
	v_pack_b32_f16 v0, v0, v2
	v_lshrrev_b32_e32 v2, 16, v1
	ds_write_b32 v102, v0 offset:1800
	v_add_f16_e32 v0, v8, v5
	v_add_f16_e32 v3, v2, v7
	v_fma_f16 v0, v0, -0.5, v1
	v_add_f16_e32 v1, v1, v8
	v_add_f16_e32 v3, v3, v6
	v_sub_f16_e32 v4, v7, v6
	v_add_f16_e32 v6, v7, v6
	v_fma_f16 v2, v6, -0.5, v2
	v_add_f16_e32 v1, v1, v5
	v_sub_f16_e32 v5, v8, v5
	v_pack_b32_f16 v1, v1, v3
	v_fma_f16 v3, v4, s1, v0
	v_fma_f16 v6, v5, s0, v2
	v_pack_b32_f16 v3, v3, v6
	ds_write2_b32 v104, v1, v3 offset0:6 offset1:231
	v_fma_f16 v0, v4, s0, v0
	v_fma_f16 v1, v5, s1, v2
	v_pack_b32_f16 v0, v0, v1
	ds_write_b32 v103, v0 offset:7200
	s_waitcnt lgkmcnt(0)
	s_barrier
	ds_read_b32 v2, v57 offset:7560
	ds_read2_b32 v[0:1], v66 offset0:56 offset1:191
	s_waitcnt lgkmcnt(1)
	v_lshrrev_b32_e32 v3, 16, v2
	v_mul_f16_sdwa v4, v56, v3 dst_sel:DWORD dst_unused:UNUSED_PAD src0_sel:WORD_1 src1_sel:DWORD
	v_fma_f16 v5, v56, v2, v4
	v_mul_f16_sdwa v2, v56, v2 dst_sel:DWORD dst_unused:UNUSED_PAD src0_sel:WORD_1 src1_sel:DWORD
	v_fma_f16 v6, v56, v3, -v2
	s_waitcnt lgkmcnt(0)
	v_lshrrev_b32_e32 v2, 16, v1
	v_mul_f16_sdwa v3, v55, v1 dst_sel:DWORD dst_unused:UNUSED_PAD src0_sel:WORD_1 src1_sel:DWORD
	v_fma_f16 v7, v55, v2, -v3
	v_mul_f16_sdwa v2, v55, v2 dst_sel:DWORD dst_unused:UNUSED_PAD src0_sel:WORD_1 src1_sel:DWORD
	v_fma_f16 v8, v55, v1, v2
	ds_read2_b32 v[1:2], v70 offset0:84 offset1:219
	v_lshrrev_b32_e32 v3, 16, v0
	v_mul_f16_sdwa v4, v45, v3 dst_sel:DWORD dst_unused:UNUSED_PAD src0_sel:WORD_1 src1_sel:DWORD
	v_fma_f16 v9, v45, v0, v4
	v_mul_f16_sdwa v0, v45, v0 dst_sel:DWORD dst_unused:UNUSED_PAD src0_sel:WORD_1 src1_sel:DWORD
	v_fma_f16 v10, v45, v3, -v0
	s_waitcnt lgkmcnt(0)
	v_lshrrev_b32_e32 v0, 16, v2
	v_mul_f16_sdwa v3, v46, v2 dst_sel:DWORD dst_unused:UNUSED_PAD src0_sel:WORD_1 src1_sel:DWORD
	v_fma_f16 v11, v46, v0, -v3
	v_mul_f16_sdwa v0, v46, v0 dst_sel:DWORD dst_unused:UNUSED_PAD src0_sel:WORD_1 src1_sel:DWORD
	v_fma_f16 v12, v46, v2, v0
	ds_read2_b32 v[2:3], v77 offset0:42 offset1:177
	;; [unrolled: 12-line block ×4, first 2 shown]
	v_lshrrev_b32_e32 v3, 16, v0
	v_mul_f16_sdwa v4, v40, v3 dst_sel:DWORD dst_unused:UNUSED_PAD src0_sel:WORD_1 src1_sel:DWORD
	v_fma_f16 v21, v40, v0, v4
	v_mul_f16_sdwa v0, v40, v0 dst_sel:DWORD dst_unused:UNUSED_PAD src0_sel:WORD_1 src1_sel:DWORD
	v_fma_f16 v0, v40, v3, -v0
	ds_read2_b32 v[3:4], v57 offset1:135
	s_waitcnt lgkmcnt(1)
	v_lshrrev_b32_e32 v22, 16, v2
	v_mul_f16_sdwa v23, v39, v2 dst_sel:DWORD dst_unused:UNUSED_PAD src0_sel:WORD_1 src1_sel:DWORD
	v_fma_f16 v23, v39, v22, -v23
	v_mul_f16_sdwa v22, v39, v22 dst_sel:DWORD dst_unused:UNUSED_PAD src0_sel:WORD_1 src1_sel:DWORD
	v_fma_f16 v2, v39, v2, v22
	v_add_f16_e32 v22, v2, v21
	s_waitcnt lgkmcnt(0)
	v_fma_f16 v22, v22, -0.5, v3
	v_sub_f16_e32 v25, v23, v0
	v_fma_f16 v26, v25, s1, v22
	v_fma_f16 v22, v25, s0, v22
	v_lshrrev_b32_e32 v25, 16, v3
	v_add_f16_e32 v27, v25, v23
	v_add_f16_e32 v27, v27, v0
	;; [unrolled: 1-line block ×3, first 2 shown]
	v_fma_f16 v0, v0, -0.5, v25
	v_add_f16_e32 v3, v3, v2
	v_sub_f16_e32 v2, v2, v21
	v_add_f16_e32 v3, v3, v21
	v_fma_f16 v21, v2, s0, v0
	v_fma_f16 v0, v2, s1, v0
	v_add_f16_e32 v2, v17, v20
	v_fma_f16 v23, v2, -0.5, v4
	v_lshrrev_b32_e32 v25, 16, v4
	v_add_f16_e32 v2, v4, v17
	v_pack_b32_f16 v0, v22, v0
	ds_write_b32 v57, v0 offset:5400
	v_add_f16_e32 v0, v2, v20
	v_add_f16_e32 v2, v25, v18
	v_pack_b32_f16 v4, v3, v27
	v_pack_b32_f16 v3, v26, v21
	v_add_f16_e32 v2, v2, v19
	ds_write_b32 v57, v3 offset:2700
	v_pack_b32_f16 v0, v0, v2
	ds_read2_b32 v[2:3], v73 offset0:14 offset1:149
	ds_write2_b32 v57, v4, v0 offset1:135
	v_add_f16_e32 v4, v18, v19
	v_sub_f16_e32 v0, v18, v19
	v_fma_f16 v4, v4, -0.5, v25
	v_sub_f16_e32 v17, v17, v20
	v_fma_f16 v18, v0, s0, v23
	v_fma_f16 v19, v17, s1, v4
	v_pack_b32_f16 v18, v18, v19
	v_add_f16_e32 v19, v16, v13
	s_waitcnt lgkmcnt(1)
	v_lshrrev_b32_e32 v20, 16, v2
	v_add_f16_e32 v21, v15, v14
	v_fma_f16 v19, v19, -0.5, v2
	v_fma_f16 v21, v21, -0.5, v20
	v_sub_f16_e32 v22, v15, v14
	v_sub_f16_e32 v26, v16, v13
	v_fma_f16 v25, v22, s0, v19
	v_fma_f16 v27, v26, s1, v21
	v_pack_b32_f16 v25, v25, v27
	ds_write2_b32 v81, v18, v25 offset0:77 offset1:212
	v_fma_f16 v0, v0, s1, v23
	v_fma_f16 v4, v17, s0, v4
	;; [unrolled: 1-line block ×4, first 2 shown]
	v_pack_b32_f16 v0, v0, v4
	v_pack_b32_f16 v4, v17, v18
	ds_write2_b32 v77, v0, v4 offset0:42 offset1:177
	v_add_f16_e32 v0, v2, v16
	v_add_f16_e32 v2, v20, v15
	;; [unrolled: 1-line block ×5, first 2 shown]
	v_fma_f16 v4, v4, -0.5, v3
	v_lshrrev_b32_e32 v13, 16, v3
	v_add_f16_e32 v3, v3, v9
	v_pack_b32_f16 v0, v0, v2
	v_add_f16_e32 v2, v3, v12
	v_add_f16_e32 v3, v13, v10
	;; [unrolled: 1-line block ×3, first 2 shown]
	v_pack_b32_f16 v2, v2, v3
	ds_write2_b32 v73, v0, v2 offset0:14 offset1:149
	v_sub_f16_e32 v0, v10, v11
	v_add_f16_e32 v3, v10, v11
	v_fma_f16 v2, v0, s1, v4
	v_fma_f16 v0, v0, s0, v4
	v_fma_f16 v3, v3, -0.5, v13
	v_sub_f16_e32 v4, v9, v12
	v_fma_f16 v9, v4, s0, v3
	v_fma_f16 v3, v4, s1, v3
	v_add_f16_e32 v4, v8, v5
	v_fma_f16 v4, v4, -0.5, v1
	v_lshrrev_b32_e32 v10, 16, v1
	v_sub_f16_e32 v11, v7, v6
	v_fma_f16 v12, v11, s1, v4
	v_fma_f16 v4, v11, s0, v4
	v_add_f16_e32 v11, v10, v7
	v_add_f16_e32 v1, v1, v8
	;; [unrolled: 1-line block ×4, first 2 shown]
	v_fma_f16 v6, v6, -0.5, v10
	v_add_f16_e32 v1, v1, v5
	v_sub_f16_e32 v5, v8, v5
	v_fma_f16 v7, v5, s0, v6
	v_pack_b32_f16 v1, v1, v11
	v_fma_f16 v5, v5, s1, v6
	v_pack_b32_f16 v2, v2, v9
	ds_write_b32 v57, v1 offset:2160
	v_pack_b32_f16 v1, v12, v7
	v_pack_b32_f16 v0, v0, v3
	ds_write2_b32 v66, v2, v1 offset0:56 offset1:191
	v_pack_b32_f16 v1, v4, v5
	ds_write2_b32 v80, v0, v1 offset0:91 offset1:226
	s_waitcnt lgkmcnt(0)
	s_barrier
	ds_read2_b32 v[2:3], v57 offset1:135
	v_mad_u64_u32 v[4:5], s[0:1], s10, v24, 0
	s_movk_i32 s10, 0x40f
	s_waitcnt lgkmcnt(0)
	v_lshrrev_b32_e32 v7, 16, v2
	v_mul_f16_sdwa v0, v76, v7 dst_sel:DWORD dst_unused:UNUSED_PAD src0_sel:WORD_1 src1_sel:DWORD
	v_fma_f16 v0, v76, v2, v0
	v_cvt_f32_f16_e32 v0, v0
	v_mad_u64_u32 v[5:6], s[0:1], s11, v24, v[5:6]
	v_mul_f16_sdwa v2, v76, v2 dst_sel:DWORD dst_unused:UNUSED_PAD src0_sel:WORD_1 src1_sel:DWORD
	v_cvt_f64_f32_e32 v[0:1], v0
	v_fma_f16 v2, v76, v7, -v2
	v_cvt_f32_f16_e32 v7, v2
	v_mov_b32_e32 v2, 0x7c00
	v_mul_f64 v[0:1], v[0:1], s[2:3]
	s_mov_b32 s11, 0x8000
	v_lshlrev_b64 v[4:5], 2, v[4:5]
	v_and_or_b32 v0, v1, s6, v0
	v_cmp_ne_u32_e32 vcc, 0, v0
	v_cndmask_b32_e64 v0, 0, 1, vcc
	v_lshrrev_b32_e32 v6, 8, v1
	v_bfe_u32 v8, v1, 20, 11
	v_and_or_b32 v0, v6, s7, v0
	v_sub_u32_e32 v9, 0x3f1, v8
	v_or_b32_e32 v6, 0x1000, v0
	v_med3_i32 v9, v9, 0, 13
	v_lshrrev_b32_e32 v10, v9, v6
	v_lshlrev_b32_e32 v9, v9, v10
	v_cmp_ne_u32_e32 vcc, v9, v6
	v_cndmask_b32_e64 v6, 0, 1, vcc
	v_add_u32_e32 v8, 0xfffffc10, v8
	v_or_b32_e32 v6, v10, v6
	v_lshl_or_b32 v9, v8, 12, v0
	v_cmp_gt_i32_e32 vcc, 1, v8
	v_cndmask_b32_e32 v6, v9, v6, vcc
	v_and_b32_e32 v9, 7, v6
	v_cmp_lt_i32_e32 vcc, 5, v9
	v_cmp_eq_u32_e64 s[0:1], 3, v9
	v_lshrrev_b32_e32 v6, 2, v6
	s_or_b64 vcc, s[0:1], vcc
	v_addc_co_u32_e32 v9, vcc, 0, v6, vcc
	v_cvt_f64_f32_e32 v[6:7], v7
	v_cmp_gt_i32_e32 vcc, 31, v8
	v_cndmask_b32_e32 v9, v2, v9, vcc
	v_cmp_ne_u32_e32 vcc, 0, v0
	v_mul_f64 v[6:7], v[6:7], s[2:3]
	v_cndmask_b32_e64 v0, 0, 1, vcc
	v_lshl_or_b32 v0, v0, 9, v2
	v_cmp_eq_u32_e32 vcc, s10, v8
	v_cndmask_b32_e32 v0, v9, v0, vcc
	v_lshrrev_b32_e32 v1, 16, v1
	v_and_or_b32 v10, v1, s11, v0
	v_and_b32_e32 v10, 0xffff, v10
	v_and_or_b32 v0, v7, s6, v6
	v_cmp_ne_u32_e32 vcc, 0, v0
	v_cndmask_b32_e64 v0, 0, 1, vcc
	v_lshrrev_b32_e32 v1, 8, v7
	v_bfe_u32 v6, v7, 20, 11
	v_and_or_b32 v0, v1, s7, v0
	v_sub_u32_e32 v8, 0x3f1, v6
	v_or_b32_e32 v1, 0x1000, v0
	v_med3_i32 v8, v8, 0, 13
	v_lshrrev_b32_e32 v9, v8, v1
	v_lshlrev_b32_e32 v8, v8, v9
	v_cmp_ne_u32_e32 vcc, v8, v1
	v_cndmask_b32_e64 v1, 0, 1, vcc
	v_add_u32_e32 v6, 0xfffffc10, v6
	v_or_b32_e32 v1, v9, v1
	v_lshl_or_b32 v8, v6, 12, v0
	v_cmp_gt_i32_e32 vcc, 1, v6
	v_cndmask_b32_e32 v1, v8, v1, vcc
	v_and_b32_e32 v8, 7, v1
	v_cmp_lt_i32_e32 vcc, 5, v8
	v_cmp_eq_u32_e64 s[0:1], 3, v8
	v_lshrrev_b32_e32 v1, 2, v1
	s_or_b64 vcc, s[0:1], vcc
	v_addc_co_u32_e32 v1, vcc, 0, v1, vcc
	v_cmp_gt_i32_e32 vcc, 31, v6
	v_cndmask_b32_e32 v1, v2, v1, vcc
	v_cmp_ne_u32_e32 vcc, 0, v0
	v_cndmask_b32_e64 v0, 0, 1, vcc
	v_lshl_or_b32 v0, v0, 9, v2
	v_cmp_eq_u32_e32 vcc, s10, v6
	v_mad_u64_u32 v[8:9], s[0:1], s8, v75, 0
	v_cndmask_b32_e32 v11, v1, v0, vcc
	ds_read2_b32 v[0:1], v79 offset0:28 offset1:163
	v_mov_b32_e32 v6, v9
	v_lshrrev_b32_e32 v12, 16, v7
	v_mad_u64_u32 v[6:7], s[0:1], s9, v75, v[6:7]
	s_waitcnt lgkmcnt(0)
	v_lshrrev_b32_e32 v13, 16, v1
	v_mul_f16_sdwa v7, v74, v13 dst_sel:DWORD dst_unused:UNUSED_PAD src0_sel:WORD_1 src1_sel:DWORD
	v_fma_f16 v7, v74, v1, v7
	v_cvt_f32_f16_e32 v7, v7
	v_mov_b32_e32 v9, v6
	v_and_or_b32 v11, v12, s11, v11
	v_lshl_or_b32 v10, v11, 16, v10
	v_cvt_f64_f32_e32 v[6:7], v7
	v_mov_b32_e32 v11, s5
	v_add_co_u32_e32 v12, vcc, s4, v4
	v_mul_f64 v[6:7], v[6:7], s[2:3]
	v_addc_co_u32_e32 v11, vcc, v11, v5, vcc
	v_lshlrev_b64 v[4:5], 2, v[8:9]
	v_mul_f16_sdwa v1, v74, v1 dst_sel:DWORD dst_unused:UNUSED_PAD src0_sel:WORD_1 src1_sel:DWORD
	v_add_co_u32_e32 v4, vcc, v12, v4
	v_addc_co_u32_e32 v5, vcc, v11, v5, vcc
	v_and_or_b32 v6, v7, s6, v6
	v_cmp_ne_u32_e32 vcc, 0, v6
	v_cndmask_b32_e64 v6, 0, 1, vcc
	v_lshrrev_b32_e32 v8, 8, v7
	v_bfe_u32 v9, v7, 20, 11
	global_store_dword v[4:5], v10, off
	v_and_or_b32 v6, v8, s7, v6
	v_sub_u32_e32 v10, 0x3f1, v9
	v_or_b32_e32 v8, 0x1000, v6
	v_med3_i32 v10, v10, 0, 13
	v_lshrrev_b32_e32 v11, v10, v8
	v_lshlrev_b32_e32 v10, v10, v11
	v_cmp_ne_u32_e32 vcc, v10, v8
	v_fma_f16 v1, v74, v13, -v1
	v_cndmask_b32_e64 v8, 0, 1, vcc
	v_add_u32_e32 v10, 0xfffffc10, v9
	v_cvt_f32_f16_e32 v1, v1
	v_or_b32_e32 v8, v11, v8
	v_lshl_or_b32 v9, v10, 12, v6
	v_cmp_gt_i32_e32 vcc, 1, v10
	v_cndmask_b32_e32 v8, v9, v8, vcc
	v_and_b32_e32 v9, 7, v8
	v_cmp_lt_i32_e32 vcc, 5, v9
	v_cmp_eq_u32_e64 s[0:1], 3, v9
	v_lshrrev_b32_e32 v11, 2, v8
	v_cvt_f64_f32_e32 v[8:9], v1
	s_or_b64 vcc, s[0:1], vcc
	v_addc_co_u32_e32 v1, vcc, 0, v11, vcc
	v_mul_f64 v[8:9], v[8:9], s[2:3]
	v_cmp_gt_i32_e32 vcc, 31, v10
	v_cndmask_b32_e32 v1, v2, v1, vcc
	v_cmp_ne_u32_e32 vcc, 0, v6
	v_cndmask_b32_e64 v6, 0, 1, vcc
	v_lshl_or_b32 v6, v6, 9, v2
	v_cmp_eq_u32_e32 vcc, s10, v10
	v_cndmask_b32_e32 v1, v1, v6, vcc
	v_lshrrev_b32_e32 v6, 16, v7
	v_and_or_b32 v1, v6, s11, v1
	v_and_or_b32 v6, v9, s6, v8
	v_cmp_ne_u32_e32 vcc, 0, v6
	v_cndmask_b32_e64 v6, 0, 1, vcc
	v_lshrrev_b32_e32 v7, 8, v9
	v_bfe_u32 v8, v9, 20, 11
	v_and_or_b32 v6, v7, s7, v6
	v_sub_u32_e32 v10, 0x3f1, v8
	v_or_b32_e32 v7, 0x1000, v6
	v_med3_i32 v10, v10, 0, 13
	v_lshrrev_b32_e32 v11, v10, v7
	v_lshlrev_b32_e32 v10, v10, v11
	v_cmp_ne_u32_e32 vcc, v10, v7
	v_cndmask_b32_e64 v7, 0, 1, vcc
	v_add_u32_e32 v8, 0xfffffc10, v8
	v_or_b32_e32 v7, v11, v7
	v_lshl_or_b32 v10, v8, 12, v6
	v_cmp_gt_i32_e32 vcc, 1, v8
	v_cndmask_b32_e32 v7, v10, v7, vcc
	v_and_b32_e32 v10, 7, v7
	v_cmp_lt_i32_e32 vcc, 5, v10
	v_cmp_eq_u32_e64 s[0:1], 3, v10
	v_lshrrev_b32_e32 v7, 2, v7
	s_or_b64 vcc, s[0:1], vcc
	v_addc_co_u32_e32 v7, vcc, 0, v7, vcc
	v_cmp_gt_i32_e32 vcc, 31, v8
	v_cndmask_b32_e32 v10, v2, v7, vcc
	v_cmp_ne_u32_e32 vcc, 0, v6
	ds_read2_b32 v[6:7], v78 offset0:70 offset1:205
	v_cndmask_b32_e64 v11, 0, 1, vcc
	v_lshl_or_b32 v11, v11, 9, v2
	v_cmp_eq_u32_e32 vcc, s10, v8
	v_cndmask_b32_e32 v8, v10, v11, vcc
	s_waitcnt lgkmcnt(0)
	v_lshrrev_b32_e32 v10, 16, v6
	v_mul_f16_sdwa v11, v72, v10 dst_sel:DWORD dst_unused:UNUSED_PAD src0_sel:WORD_1 src1_sel:DWORD
	v_fma_f16 v11, v72, v6, v11
	v_cvt_f32_f16_e32 v11, v11
	v_lshrrev_b32_e32 v9, 16, v9
	v_and_or_b32 v8, v9, s11, v8
	v_and_b32_e32 v1, 0xffff, v1
	v_lshl_or_b32 v1, v8, 16, v1
	v_cvt_f64_f32_e32 v[8:9], v11
	s_mul_i32 s0, s9, 0xa8c
	s_mul_hi_u32 s4, s8, 0xa8c
	s_add_i32 s4, s4, s0
	v_mul_f64 v[8:9], v[8:9], s[2:3]
	s_mul_i32 s5, s8, 0xa8c
	v_mov_b32_e32 v11, s4
	v_add_co_u32_e32 v4, vcc, s5, v4
	v_addc_co_u32_e32 v5, vcc, v5, v11, vcc
	global_store_dword v[4:5], v1, off
	v_and_or_b32 v1, v9, s6, v8
	v_cmp_ne_u32_e32 vcc, 0, v1
	v_cndmask_b32_e64 v1, 0, 1, vcc
	v_lshrrev_b32_e32 v8, 8, v9
	v_bfe_u32 v11, v9, 20, 11
	v_and_or_b32 v1, v8, s7, v1
	v_sub_u32_e32 v12, 0x3f1, v11
	v_or_b32_e32 v8, 0x1000, v1
	v_med3_i32 v12, v12, 0, 13
	v_lshrrev_b32_e32 v13, v12, v8
	v_lshlrev_b32_e32 v12, v12, v13
	v_mul_f16_sdwa v6, v72, v6 dst_sel:DWORD dst_unused:UNUSED_PAD src0_sel:WORD_1 src1_sel:DWORD
	v_cmp_ne_u32_e32 vcc, v12, v8
	v_fma_f16 v6, v72, v10, -v6
	v_cndmask_b32_e64 v8, 0, 1, vcc
	v_add_u32_e32 v12, 0xfffffc10, v11
	v_cvt_f32_f16_e32 v6, v6
	v_or_b32_e32 v8, v13, v8
	v_lshl_or_b32 v11, v12, 12, v1
	v_cmp_gt_i32_e32 vcc, 1, v12
	v_cndmask_b32_e32 v8, v11, v8, vcc
	v_and_b32_e32 v11, 7, v8
	v_cmp_lt_i32_e32 vcc, 5, v11
	v_cmp_eq_u32_e64 s[0:1], 3, v11
	v_cvt_f64_f32_e32 v[10:11], v6
	v_lshrrev_b32_e32 v8, 2, v8
	s_or_b64 vcc, s[0:1], vcc
	v_addc_co_u32_e32 v6, vcc, 0, v8, vcc
	v_mul_f64 v[10:11], v[10:11], s[2:3]
	v_cmp_gt_i32_e32 vcc, 31, v12
	v_cndmask_b32_e32 v6, v2, v6, vcc
	v_cmp_ne_u32_e32 vcc, 0, v1
	v_cndmask_b32_e64 v1, 0, 1, vcc
	v_lshl_or_b32 v1, v1, 9, v2
	v_cmp_eq_u32_e32 vcc, s10, v12
	v_cndmask_b32_e32 v1, v6, v1, vcc
	v_lshrrev_b32_e32 v6, 16, v9
	v_and_or_b32 v1, v6, s11, v1
	v_and_or_b32 v6, v11, s6, v10
	v_cmp_ne_u32_e32 vcc, 0, v6
	v_cndmask_b32_e64 v6, 0, 1, vcc
	v_lshrrev_b32_e32 v8, 8, v11
	v_bfe_u32 v9, v11, 20, 11
	v_and_or_b32 v6, v8, s7, v6
	v_sub_u32_e32 v10, 0x3f1, v9
	v_or_b32_e32 v8, 0x1000, v6
	v_med3_i32 v10, v10, 0, 13
	v_lshrrev_b32_e32 v12, v10, v8
	v_lshlrev_b32_e32 v10, v10, v12
	v_cmp_ne_u32_e32 vcc, v10, v8
	v_cndmask_b32_e64 v8, 0, 1, vcc
	v_add_u32_e32 v9, 0xfffffc10, v9
	v_or_b32_e32 v8, v12, v8
	v_lshl_or_b32 v10, v9, 12, v6
	v_cmp_gt_i32_e32 vcc, 1, v9
	v_cndmask_b32_e32 v8, v10, v8, vcc
	v_and_b32_e32 v10, 7, v8
	v_cmp_lt_i32_e32 vcc, 5, v10
	v_cmp_eq_u32_e64 s[0:1], 3, v10
	v_lshrrev_b32_e32 v10, 16, v3
	v_lshrrev_b32_e32 v8, 2, v8
	s_or_b64 vcc, s[0:1], vcc
	v_mul_f16_sdwa v12, v71, v10 dst_sel:DWORD dst_unused:UNUSED_PAD src0_sel:WORD_1 src1_sel:DWORD
	v_addc_co_u32_e32 v8, vcc, 0, v8, vcc
	v_fma_f16 v12, v71, v3, v12
	v_cmp_gt_i32_e32 vcc, 31, v9
	v_cvt_f32_f16_e32 v12, v12
	v_cndmask_b32_e32 v8, v2, v8, vcc
	v_cmp_ne_u32_e32 vcc, 0, v6
	v_cndmask_b32_e64 v6, 0, 1, vcc
	v_lshl_or_b32 v6, v6, 9, v2
	v_cmp_eq_u32_e32 vcc, s10, v9
	v_cndmask_b32_e32 v6, v8, v6, vcc
	v_cvt_f64_f32_e32 v[8:9], v12
	v_lshrrev_b32_e32 v11, 16, v11
	v_and_or_b32 v6, v11, s11, v6
	v_and_b32_e32 v1, 0xffff, v1
	v_mul_f64 v[8:9], v[8:9], s[2:3]
	v_lshl_or_b32 v1, v6, 16, v1
	v_mov_b32_e32 v6, s4
	v_add_co_u32_e32 v4, vcc, s5, v4
	v_addc_co_u32_e32 v5, vcc, v5, v6, vcc
	global_store_dword v[4:5], v1, off
	v_and_or_b32 v1, v9, s6, v8
	v_cmp_ne_u32_e32 vcc, 0, v1
	v_cndmask_b32_e64 v1, 0, 1, vcc
	v_lshrrev_b32_e32 v6, 8, v9
	v_bfe_u32 v8, v9, 20, 11
	v_and_or_b32 v1, v6, s7, v1
	v_sub_u32_e32 v11, 0x3f1, v8
	v_or_b32_e32 v6, 0x1000, v1
	v_med3_i32 v11, v11, 0, 13
	v_lshrrev_b32_e32 v12, v11, v6
	v_lshlrev_b32_e32 v11, v11, v12
	v_mul_f16_sdwa v3, v71, v3 dst_sel:DWORD dst_unused:UNUSED_PAD src0_sel:WORD_1 src1_sel:DWORD
	v_cmp_ne_u32_e32 vcc, v11, v6
	v_fma_f16 v3, v71, v10, -v3
	v_cndmask_b32_e64 v6, 0, 1, vcc
	v_add_u32_e32 v8, 0xfffffc10, v8
	v_cvt_f32_f16_e32 v3, v3
	v_or_b32_e32 v6, v12, v6
	v_lshl_or_b32 v11, v8, 12, v1
	v_cmp_gt_i32_e32 vcc, 1, v8
	v_cndmask_b32_e32 v6, v11, v6, vcc
	v_and_b32_e32 v11, 7, v6
	v_cmp_lt_i32_e32 vcc, 5, v11
	v_cmp_eq_u32_e64 s[0:1], 3, v11
	v_cvt_f64_f32_e32 v[10:11], v3
	v_lshrrev_b32_e32 v6, 2, v6
	s_or_b64 vcc, s[0:1], vcc
	v_addc_co_u32_e32 v3, vcc, 0, v6, vcc
	v_mul_f64 v[10:11], v[10:11], s[2:3]
	v_cmp_gt_i32_e32 vcc, 31, v8
	v_cndmask_b32_e32 v3, v2, v3, vcc
	v_cmp_ne_u32_e32 vcc, 0, v1
	v_cndmask_b32_e64 v1, 0, 1, vcc
	v_lshl_or_b32 v1, v1, 9, v2
	v_cmp_eq_u32_e32 vcc, s10, v8
	v_cndmask_b32_e32 v1, v3, v1, vcc
	v_lshrrev_b32_e32 v3, 16, v9
	v_and_or_b32 v1, v3, s11, v1
	v_and_or_b32 v3, v11, s6, v10
	v_cmp_ne_u32_e32 vcc, 0, v3
	v_cndmask_b32_e64 v3, 0, 1, vcc
	v_lshrrev_b32_e32 v6, 8, v11
	v_bfe_u32 v8, v11, 20, 11
	v_and_or_b32 v3, v6, s7, v3
	v_sub_u32_e32 v9, 0x3f1, v8
	v_or_b32_e32 v6, 0x1000, v3
	v_med3_i32 v9, v9, 0, 13
	v_lshrrev_b32_e32 v10, v9, v6
	v_lshlrev_b32_e32 v9, v9, v10
	v_cmp_ne_u32_e32 vcc, v9, v6
	v_cndmask_b32_e64 v6, 0, 1, vcc
	v_or_b32_e32 v6, v10, v6
	v_add_u32_e32 v10, 0xfffffc10, v8
	v_lshl_or_b32 v8, v10, 12, v3
	v_cmp_gt_i32_e32 vcc, 1, v10
	v_cndmask_b32_e32 v6, v8, v6, vcc
	v_and_b32_e32 v8, 7, v6
	v_cmp_lt_i32_e32 vcc, 5, v8
	v_cmp_eq_u32_e64 s[0:1], 3, v8
	v_lshrrev_b32_e32 v6, 2, v6
	s_or_b64 vcc, s[0:1], vcc
	v_addc_co_u32_e32 v6, vcc, 0, v6, vcc
	v_cmp_gt_i32_e32 vcc, 31, v10
	ds_read2_b32 v[8:9], v77 offset0:42 offset1:177
	v_cndmask_b32_e32 v6, v2, v6, vcc
	v_cmp_ne_u32_e32 vcc, 0, v3
	v_cndmask_b32_e64 v3, 0, 1, vcc
	v_lshl_or_b32 v3, v3, 9, v2
	v_cmp_eq_u32_e32 vcc, s10, v10
	v_cndmask_b32_e32 v3, v6, v3, vcc
	v_lshrrev_b32_e32 v6, 16, v11
	v_and_or_b32 v3, v6, s11, v3
	s_waitcnt lgkmcnt(0)
	v_lshrrev_b32_e32 v6, 16, v8
	v_mul_f16_sdwa v10, v68, v6 dst_sel:DWORD dst_unused:UNUSED_PAD src0_sel:WORD_1 src1_sel:DWORD
	v_fma_f16 v10, v68, v8, v10
	v_cvt_f32_f16_e32 v10, v10
	s_mul_hi_u32 s1, s8, 0xffffed04
	s_mul_i32 s0, s9, 0xffffed04
	s_sub_i32 s9, s1, s8
	v_cvt_f64_f32_e32 v[10:11], v10
	v_and_b32_e32 v1, 0xffff, v1
	s_add_i32 s9, s9, s0
	s_mulk_i32 s8, 0xed04
	v_mul_f64 v[10:11], v[10:11], s[2:3]
	v_lshl_or_b32 v1, v3, 16, v1
	v_mov_b32_e32 v12, s9
	v_add_co_u32_e32 v3, vcc, s8, v4
	v_addc_co_u32_e32 v4, vcc, v5, v12, vcc
	global_store_dword v[3:4], v1, off
	v_and_or_b32 v1, v11, s6, v10
	v_cmp_ne_u32_e32 vcc, 0, v1
	v_cndmask_b32_e64 v1, 0, 1, vcc
	v_lshrrev_b32_e32 v5, 8, v11
	v_bfe_u32 v10, v11, 20, 11
	v_and_or_b32 v1, v5, s7, v1
	v_sub_u32_e32 v12, 0x3f1, v10
	v_or_b32_e32 v5, 0x1000, v1
	v_med3_i32 v12, v12, 0, 13
	v_lshrrev_b32_e32 v13, v12, v5
	v_mul_f16_sdwa v8, v68, v8 dst_sel:DWORD dst_unused:UNUSED_PAD src0_sel:WORD_1 src1_sel:DWORD
	v_lshlrev_b32_e32 v12, v12, v13
	v_fma_f16 v6, v68, v6, -v8
	v_cmp_ne_u32_e32 vcc, v12, v5
	v_cvt_f32_f16_e32 v6, v6
	v_cndmask_b32_e64 v5, 0, 1, vcc
	v_add_u32_e32 v10, 0xfffffc10, v10
	v_or_b32_e32 v5, v13, v5
	v_lshl_or_b32 v12, v10, 12, v1
	v_cmp_gt_i32_e32 vcc, 1, v10
	v_cndmask_b32_e32 v5, v12, v5, vcc
	v_and_b32_e32 v12, 7, v5
	v_lshrrev_b32_e32 v8, 2, v5
	v_cvt_f64_f32_e32 v[5:6], v6
	v_cmp_lt_i32_e32 vcc, 5, v12
	v_cmp_eq_u32_e64 s[0:1], 3, v12
	s_or_b64 vcc, s[0:1], vcc
	v_mul_f64 v[5:6], v[5:6], s[2:3]
	v_addc_co_u32_e32 v8, vcc, 0, v8, vcc
	v_cmp_gt_i32_e32 vcc, 31, v10
	v_cndmask_b32_e32 v8, v2, v8, vcc
	v_cmp_ne_u32_e32 vcc, 0, v1
	v_cndmask_b32_e64 v1, 0, 1, vcc
	v_lshl_or_b32 v1, v1, 9, v2
	v_cmp_eq_u32_e32 vcc, s10, v10
	v_and_or_b32 v5, v6, s6, v5
	v_cndmask_b32_e32 v1, v8, v1, vcc
	v_lshrrev_b32_e32 v8, 16, v11
	v_cmp_ne_u32_e32 vcc, 0, v5
	v_and_or_b32 v1, v8, s11, v1
	v_cndmask_b32_e64 v5, 0, 1, vcc
	v_lshrrev_b32_e32 v8, 8, v6
	v_bfe_u32 v10, v6, 20, 11
	v_and_or_b32 v5, v8, s7, v5
	v_sub_u32_e32 v11, 0x3f1, v10
	v_or_b32_e32 v8, 0x1000, v5
	v_med3_i32 v11, v11, 0, 13
	v_lshrrev_b32_e32 v12, v11, v8
	v_lshlrev_b32_e32 v11, v11, v12
	v_cmp_ne_u32_e32 vcc, v11, v8
	v_cndmask_b32_e64 v8, 0, 1, vcc
	v_add_u32_e32 v10, 0xfffffc10, v10
	v_or_b32_e32 v8, v12, v8
	v_lshl_or_b32 v11, v10, 12, v5
	v_cmp_gt_i32_e32 vcc, 1, v10
	v_cndmask_b32_e32 v8, v11, v8, vcc
	v_and_b32_e32 v11, 7, v8
	v_lshrrev_b32_e32 v12, 16, v7
	v_cmp_lt_i32_e32 vcc, 5, v11
	v_cmp_eq_u32_e64 s[0:1], 3, v11
	v_mul_f16_sdwa v11, v69, v12 dst_sel:DWORD dst_unused:UNUSED_PAD src0_sel:WORD_1 src1_sel:DWORD
	v_fma_f16 v11, v69, v7, v11
	v_lshrrev_b32_e32 v8, 2, v8
	s_or_b64 vcc, s[0:1], vcc
	v_cvt_f32_f16_e32 v11, v11
	v_addc_co_u32_e32 v8, vcc, 0, v8, vcc
	v_cmp_gt_i32_e32 vcc, 31, v10
	v_cndmask_b32_e32 v8, v2, v8, vcc
	v_cmp_ne_u32_e32 vcc, 0, v5
	v_cndmask_b32_e64 v5, 0, 1, vcc
	v_cmp_eq_u32_e32 vcc, s10, v10
	v_cvt_f64_f32_e32 v[10:11], v11
	v_lshl_or_b32 v5, v5, 9, v2
	v_cndmask_b32_e32 v5, v8, v5, vcc
	v_lshrrev_b32_e32 v6, 16, v6
	v_and_or_b32 v8, v6, s11, v5
	v_mul_f64 v[5:6], v[10:11], s[2:3]
	v_and_b32_e32 v1, 0xffff, v1
	v_lshl_or_b32 v1, v8, 16, v1
	v_mov_b32_e32 v8, s4
	v_add_co_u32_e32 v3, vcc, s5, v3
	v_addc_co_u32_e32 v4, vcc, v4, v8, vcc
	global_store_dword v[3:4], v1, off
	v_and_or_b32 v1, v6, s6, v5
	v_cmp_ne_u32_e32 vcc, 0, v1
	v_cndmask_b32_e64 v1, 0, 1, vcc
	v_lshrrev_b32_e32 v5, 8, v6
	v_bfe_u32 v8, v6, 20, 11
	v_and_or_b32 v1, v5, s7, v1
	v_sub_u32_e32 v10, 0x3f1, v8
	v_or_b32_e32 v5, 0x1000, v1
	v_med3_i32 v10, v10, 0, 13
	v_lshrrev_b32_e32 v11, v10, v5
	v_lshlrev_b32_e32 v10, v10, v11
	v_mul_f16_sdwa v7, v69, v7 dst_sel:DWORD dst_unused:UNUSED_PAD src0_sel:WORD_1 src1_sel:DWORD
	v_cmp_ne_u32_e32 vcc, v10, v5
	v_fma_f16 v7, v69, v12, -v7
	v_cndmask_b32_e64 v5, 0, 1, vcc
	v_add_u32_e32 v10, 0xfffffc10, v8
	v_cvt_f32_f16_e32 v7, v7
	v_or_b32_e32 v5, v11, v5
	v_lshl_or_b32 v8, v10, 12, v1
	v_cmp_gt_i32_e32 vcc, 1, v10
	v_cndmask_b32_e32 v5, v8, v5, vcc
	v_and_b32_e32 v8, 7, v5
	v_cmp_lt_i32_e32 vcc, 5, v8
	v_cmp_eq_u32_e64 s[0:1], 3, v8
	v_cvt_f64_f32_e32 v[7:8], v7
	v_lshrrev_b32_e32 v5, 2, v5
	s_or_b64 vcc, s[0:1], vcc
	v_addc_co_u32_e32 v5, vcc, 0, v5, vcc
	v_mul_f64 v[7:8], v[7:8], s[2:3]
	v_cmp_gt_i32_e32 vcc, 31, v10
	v_cndmask_b32_e32 v5, v2, v5, vcc
	v_cmp_ne_u32_e32 vcc, 0, v1
	v_cndmask_b32_e64 v1, 0, 1, vcc
	v_lshl_or_b32 v1, v1, 9, v2
	v_cmp_eq_u32_e32 vcc, s10, v10
	v_cndmask_b32_e32 v1, v5, v1, vcc
	v_lshrrev_b32_e32 v5, 16, v6
	v_and_or_b32 v1, v5, s11, v1
	v_and_or_b32 v5, v8, s6, v7
	v_cmp_ne_u32_e32 vcc, 0, v5
	v_cndmask_b32_e64 v5, 0, 1, vcc
	v_lshrrev_b32_e32 v6, 8, v8
	v_and_or_b32 v7, v6, s7, v5
	v_bfe_u32 v6, v8, 20, 11
	v_sub_u32_e32 v10, 0x3f1, v6
	v_or_b32_e32 v5, 0x1000, v7
	v_med3_i32 v10, v10, 0, 13
	v_lshrrev_b32_e32 v11, v10, v5
	v_lshlrev_b32_e32 v10, v10, v11
	v_cmp_ne_u32_e32 vcc, v10, v5
	v_cndmask_b32_e64 v5, 0, 1, vcc
	v_add_u32_e32 v10, 0xfffffc10, v6
	v_or_b32_e32 v5, v11, v5
	v_lshl_or_b32 v6, v10, 12, v7
	v_cmp_gt_i32_e32 vcc, 1, v10
	v_cndmask_b32_e32 v5, v6, v5, vcc
	v_and_b32_e32 v6, 7, v5
	v_cmp_lt_i32_e32 vcc, 5, v6
	v_cmp_eq_u32_e64 s[0:1], 3, v6
	v_lshrrev_b32_e32 v5, 2, v5
	s_or_b64 vcc, s[0:1], vcc
	v_addc_co_u32_e32 v11, vcc, 0, v5, vcc
	ds_read2_b32 v[5:6], v73 offset0:14 offset1:149
	v_cmp_gt_i32_e32 vcc, 31, v10
	v_cndmask_b32_e32 v11, v2, v11, vcc
	v_cmp_ne_u32_e32 vcc, 0, v7
	v_cndmask_b32_e64 v7, 0, 1, vcc
	s_waitcnt lgkmcnt(0)
	v_lshrrev_b32_e32 v12, 16, v5
	v_mul_f16_sdwa v13, v67, v12 dst_sel:DWORD dst_unused:UNUSED_PAD src0_sel:WORD_1 src1_sel:DWORD
	v_fma_f16 v13, v67, v5, v13
	v_cvt_f32_f16_e32 v13, v13
	v_lshl_or_b32 v7, v7, 9, v2
	v_cmp_eq_u32_e32 vcc, s10, v10
	v_cndmask_b32_e32 v7, v11, v7, vcc
	v_cvt_f64_f32_e32 v[10:11], v13
	v_lshrrev_b32_e32 v8, 16, v8
	v_and_or_b32 v13, v8, s11, v7
	v_and_b32_e32 v1, 0xffff, v1
	v_mul_f64 v[7:8], v[10:11], s[2:3]
	v_mov_b32_e32 v10, s4
	v_add_co_u32_e32 v3, vcc, s5, v3
	v_lshl_or_b32 v1, v13, 16, v1
	v_addc_co_u32_e32 v4, vcc, v4, v10, vcc
	global_store_dword v[3:4], v1, off
	v_and_or_b32 v1, v8, s6, v7
	v_cmp_ne_u32_e32 vcc, 0, v1
	v_cndmask_b32_e64 v1, 0, 1, vcc
	v_lshrrev_b32_e32 v7, 8, v8
	v_bfe_u32 v10, v8, 20, 11
	v_and_or_b32 v1, v7, s7, v1
	v_sub_u32_e32 v11, 0x3f1, v10
	v_or_b32_e32 v7, 0x1000, v1
	v_med3_i32 v11, v11, 0, 13
	v_lshrrev_b32_e32 v13, v11, v7
	v_lshlrev_b32_e32 v11, v11, v13
	v_cmp_ne_u32_e32 vcc, v11, v7
	v_mul_f16_sdwa v5, v67, v5 dst_sel:DWORD dst_unused:UNUSED_PAD src0_sel:WORD_1 src1_sel:DWORD
	v_cndmask_b32_e64 v7, 0, 1, vcc
	v_fma_f16 v5, v67, v12, -v5
	v_or_b32_e32 v7, v13, v7
	v_add_u32_e32 v13, 0xfffffc10, v10
	v_cvt_f32_f16_e32 v5, v5
	v_lshl_or_b32 v10, v13, 12, v1
	v_cmp_gt_i32_e32 vcc, 1, v13
	v_cndmask_b32_e32 v7, v10, v7, vcc
	v_and_b32_e32 v10, 7, v7
	v_cmp_lt_i32_e32 vcc, 5, v10
	v_cmp_eq_u32_e64 s[0:1], 3, v10
	v_cvt_f64_f32_e32 v[10:11], v5
	v_lshrrev_b32_e32 v7, 2, v7
	s_or_b64 vcc, s[0:1], vcc
	v_addc_co_u32_e32 v5, vcc, 0, v7, vcc
	v_mul_f64 v[10:11], v[10:11], s[2:3]
	v_cmp_gt_i32_e32 vcc, 31, v13
	v_cndmask_b32_e32 v5, v2, v5, vcc
	v_cmp_ne_u32_e32 vcc, 0, v1
	v_cndmask_b32_e64 v1, 0, 1, vcc
	v_lshl_or_b32 v1, v1, 9, v2
	v_cmp_eq_u32_e32 vcc, s10, v13
	v_cndmask_b32_e32 v1, v5, v1, vcc
	v_lshrrev_b32_e32 v5, 16, v8
	v_and_or_b32 v1, v5, s11, v1
	v_and_or_b32 v5, v11, s6, v10
	v_cmp_ne_u32_e32 vcc, 0, v5
	v_cndmask_b32_e64 v5, 0, 1, vcc
	v_lshrrev_b32_e32 v7, 8, v11
	v_bfe_u32 v8, v11, 20, 11
	v_and_or_b32 v5, v7, s7, v5
	v_sub_u32_e32 v10, 0x3f1, v8
	v_or_b32_e32 v7, 0x1000, v5
	v_med3_i32 v10, v10, 0, 13
	v_lshrrev_b32_e32 v12, v10, v7
	v_lshlrev_b32_e32 v10, v10, v12
	v_cmp_ne_u32_e32 vcc, v10, v7
	v_cndmask_b32_e64 v7, 0, 1, vcc
	v_add_u32_e32 v8, 0xfffffc10, v8
	v_or_b32_e32 v7, v12, v7
	v_lshl_or_b32 v10, v8, 12, v5
	v_cmp_gt_i32_e32 vcc, 1, v8
	v_cndmask_b32_e32 v7, v10, v7, vcc
	v_and_b32_e32 v10, 7, v7
	v_cmp_lt_i32_e32 vcc, 5, v10
	v_cmp_eq_u32_e64 s[0:1], 3, v10
	v_lshrrev_b32_e32 v10, 16, v9
	v_lshrrev_b32_e32 v7, 2, v7
	s_or_b64 vcc, s[0:1], vcc
	v_mul_f16_sdwa v12, v65, v10 dst_sel:DWORD dst_unused:UNUSED_PAD src0_sel:WORD_1 src1_sel:DWORD
	v_addc_co_u32_e32 v7, vcc, 0, v7, vcc
	v_fma_f16 v12, v65, v9, v12
	v_cmp_gt_i32_e32 vcc, 31, v8
	v_cvt_f32_f16_e32 v12, v12
	v_cndmask_b32_e32 v7, v2, v7, vcc
	v_cmp_ne_u32_e32 vcc, 0, v5
	v_cndmask_b32_e64 v5, 0, 1, vcc
	v_lshl_or_b32 v5, v5, 9, v2
	v_cmp_eq_u32_e32 vcc, s10, v8
	v_cndmask_b32_e32 v5, v7, v5, vcc
	v_cvt_f64_f32_e32 v[7:8], v12
	v_lshrrev_b32_e32 v11, 16, v11
	v_and_or_b32 v5, v11, s11, v5
	v_and_b32_e32 v1, 0xffff, v1
	v_mul_f64 v[7:8], v[7:8], s[2:3]
	v_lshl_or_b32 v1, v5, 16, v1
	v_mov_b32_e32 v5, s9
	v_add_co_u32_e32 v3, vcc, s8, v3
	v_addc_co_u32_e32 v4, vcc, v4, v5, vcc
	global_store_dword v[3:4], v1, off
	v_and_or_b32 v1, v8, s6, v7
	v_cmp_ne_u32_e32 vcc, 0, v1
	v_cndmask_b32_e64 v1, 0, 1, vcc
	v_lshrrev_b32_e32 v5, 8, v8
	v_bfe_u32 v7, v8, 20, 11
	v_mul_f16_sdwa v9, v65, v9 dst_sel:DWORD dst_unused:UNUSED_PAD src0_sel:WORD_1 src1_sel:DWORD
	v_and_or_b32 v1, v5, s7, v1
	v_sub_u32_e32 v11, 0x3f1, v7
	v_fma_f16 v9, v65, v10, -v9
	v_or_b32_e32 v5, 0x1000, v1
	v_med3_i32 v11, v11, 0, 13
	v_cvt_f32_f16_e32 v9, v9
	v_lshrrev_b32_e32 v12, v11, v5
	v_lshlrev_b32_e32 v11, v11, v12
	v_cmp_ne_u32_e32 vcc, v11, v5
	v_cndmask_b32_e64 v5, 0, 1, vcc
	v_add_u32_e32 v7, 0xfffffc10, v7
	v_cvt_f64_f32_e32 v[9:10], v9
	v_or_b32_e32 v5, v12, v5
	v_lshl_or_b32 v11, v7, 12, v1
	v_cmp_gt_i32_e32 vcc, 1, v7
	v_cndmask_b32_e32 v5, v11, v5, vcc
	v_and_b32_e32 v11, 7, v5
	v_cmp_lt_i32_e32 vcc, 5, v11
	v_cmp_eq_u32_e64 s[0:1], 3, v11
	v_mul_f64 v[9:10], v[9:10], s[2:3]
	v_lshrrev_b32_e32 v5, 2, v5
	s_or_b64 vcc, s[0:1], vcc
	v_addc_co_u32_e32 v5, vcc, 0, v5, vcc
	v_cmp_gt_i32_e32 vcc, 31, v7
	v_cndmask_b32_e32 v5, v2, v5, vcc
	v_cmp_ne_u32_e32 vcc, 0, v1
	v_cndmask_b32_e64 v1, 0, 1, vcc
	v_lshl_or_b32 v1, v1, 9, v2
	v_cmp_eq_u32_e32 vcc, s10, v7
	v_cndmask_b32_e32 v1, v5, v1, vcc
	v_lshrrev_b32_e32 v5, 16, v8
	v_and_or_b32 v1, v5, s11, v1
	v_and_or_b32 v5, v10, s6, v9
	v_cmp_ne_u32_e32 vcc, 0, v5
	v_cndmask_b32_e64 v5, 0, 1, vcc
	v_lshrrev_b32_e32 v7, 8, v10
	v_bfe_u32 v8, v10, 20, 11
	v_and_or_b32 v5, v7, s7, v5
	v_sub_u32_e32 v9, 0x3f1, v8
	v_or_b32_e32 v7, 0x1000, v5
	v_med3_i32 v9, v9, 0, 13
	v_lshrrev_b32_e32 v11, v9, v7
	v_lshlrev_b32_e32 v9, v9, v11
	v_cmp_ne_u32_e32 vcc, v9, v7
	v_cndmask_b32_e64 v7, 0, 1, vcc
	v_add_u32_e32 v9, 0xfffffc10, v8
	v_or_b32_e32 v7, v11, v7
	v_lshl_or_b32 v8, v9, 12, v5
	v_cmp_gt_i32_e32 vcc, 1, v9
	v_cndmask_b32_e32 v7, v8, v7, vcc
	v_and_b32_e32 v8, 7, v7
	v_cmp_lt_i32_e32 vcc, 5, v8
	v_cmp_eq_u32_e64 s[0:1], 3, v8
	v_lshrrev_b32_e32 v7, 2, v7
	s_or_b64 vcc, s[0:1], vcc
	v_addc_co_u32_e32 v11, vcc, 0, v7, vcc
	ds_read2_b32 v[7:8], v70 offset0:84 offset1:219
	v_cmp_gt_i32_e32 vcc, 31, v9
	v_cndmask_b32_e32 v11, v2, v11, vcc
	v_cmp_ne_u32_e32 vcc, 0, v5
	v_cndmask_b32_e64 v5, 0, 1, vcc
	s_waitcnt lgkmcnt(0)
	v_lshrrev_b32_e32 v13, 16, v7
	v_mul_f16_sdwa v12, v64, v13 dst_sel:DWORD dst_unused:UNUSED_PAD src0_sel:WORD_1 src1_sel:DWORD
	v_fma_f16 v12, v64, v7, v12
	v_cvt_f32_f16_e32 v12, v12
	v_lshl_or_b32 v5, v5, 9, v2
	v_cmp_eq_u32_e32 vcc, s10, v9
	v_cndmask_b32_e32 v5, v11, v5, vcc
	v_cvt_f64_f32_e32 v[11:12], v12
	v_lshrrev_b32_e32 v9, 16, v10
	v_and_or_b32 v5, v9, s11, v5
	v_and_b32_e32 v1, 0xffff, v1
	v_mul_f64 v[9:10], v[11:12], s[2:3]
	v_lshl_or_b32 v1, v5, 16, v1
	v_mov_b32_e32 v5, s4
	v_add_co_u32_e32 v3, vcc, s5, v3
	v_addc_co_u32_e32 v4, vcc, v4, v5, vcc
	global_store_dword v[3:4], v1, off
	v_and_or_b32 v1, v10, s6, v9
	v_cmp_ne_u32_e32 vcc, 0, v1
	v_cndmask_b32_e64 v1, 0, 1, vcc
	v_lshrrev_b32_e32 v5, 8, v10
	v_bfe_u32 v9, v10, 20, 11
	v_and_or_b32 v1, v5, s7, v1
	v_sub_u32_e32 v11, 0x3f1, v9
	v_or_b32_e32 v5, 0x1000, v1
	v_med3_i32 v11, v11, 0, 13
	v_lshrrev_b32_e32 v12, v11, v5
	v_lshlrev_b32_e32 v11, v11, v12
	v_mul_f16_sdwa v7, v64, v7 dst_sel:DWORD dst_unused:UNUSED_PAD src0_sel:WORD_1 src1_sel:DWORD
	v_cmp_ne_u32_e32 vcc, v11, v5
	v_fma_f16 v7, v64, v13, -v7
	v_cndmask_b32_e64 v5, 0, 1, vcc
	v_add_u32_e32 v9, 0xfffffc10, v9
	v_cvt_f32_f16_e32 v7, v7
	v_or_b32_e32 v5, v12, v5
	v_lshl_or_b32 v11, v9, 12, v1
	v_cmp_gt_i32_e32 vcc, 1, v9
	v_cndmask_b32_e32 v5, v11, v5, vcc
	v_and_b32_e32 v11, 7, v5
	v_cmp_lt_i32_e32 vcc, 5, v11
	v_cmp_eq_u32_e64 s[0:1], 3, v11
	v_cvt_f64_f32_e32 v[11:12], v7
	v_lshrrev_b32_e32 v5, 2, v5
	s_or_b64 vcc, s[0:1], vcc
	v_addc_co_u32_e32 v5, vcc, 0, v5, vcc
	v_mul_f64 v[11:12], v[11:12], s[2:3]
	v_cmp_gt_i32_e32 vcc, 31, v9
	v_cndmask_b32_e32 v5, v2, v5, vcc
	v_cmp_ne_u32_e32 vcc, 0, v1
	v_cndmask_b32_e64 v1, 0, 1, vcc
	v_lshl_or_b32 v1, v1, 9, v2
	v_cmp_eq_u32_e32 vcc, s10, v9
	v_cndmask_b32_e32 v1, v5, v1, vcc
	v_lshrrev_b32_e32 v5, 16, v10
	v_and_or_b32 v1, v5, s11, v1
	v_and_or_b32 v5, v12, s6, v11
	v_cmp_ne_u32_e32 vcc, 0, v5
	v_cndmask_b32_e64 v5, 0, 1, vcc
	v_lshrrev_b32_e32 v7, 8, v12
	v_bfe_u32 v9, v12, 20, 11
	v_and_or_b32 v5, v7, s7, v5
	v_sub_u32_e32 v10, 0x3f1, v9
	v_or_b32_e32 v7, 0x1000, v5
	v_med3_i32 v10, v10, 0, 13
	v_lshrrev_b32_e32 v11, v10, v7
	v_lshlrev_b32_e32 v10, v10, v11
	v_cmp_ne_u32_e32 vcc, v10, v7
	v_cndmask_b32_e64 v7, 0, 1, vcc
	v_add_u32_e32 v9, 0xfffffc10, v9
	v_or_b32_e32 v7, v11, v7
	v_lshl_or_b32 v10, v9, 12, v5
	v_cmp_gt_i32_e32 vcc, 1, v9
	v_cndmask_b32_e32 v7, v10, v7, vcc
	v_and_b32_e32 v10, 7, v7
	v_lshrrev_b32_e32 v11, 16, v6
	v_cmp_lt_i32_e32 vcc, 5, v10
	v_cmp_eq_u32_e64 s[0:1], 3, v10
	v_mul_f16_sdwa v10, v62, v11 dst_sel:DWORD dst_unused:UNUSED_PAD src0_sel:WORD_1 src1_sel:DWORD
	v_fma_f16 v10, v62, v6, v10
	v_lshrrev_b32_e32 v7, 2, v7
	s_or_b64 vcc, s[0:1], vcc
	v_cvt_f32_f16_e32 v10, v10
	v_addc_co_u32_e32 v7, vcc, 0, v7, vcc
	v_cmp_gt_i32_e32 vcc, 31, v9
	v_cndmask_b32_e32 v7, v2, v7, vcc
	v_cmp_ne_u32_e32 vcc, 0, v5
	v_cndmask_b32_e64 v5, 0, 1, vcc
	v_cmp_eq_u32_e32 vcc, s10, v9
	v_cvt_f64_f32_e32 v[9:10], v10
	v_lshl_or_b32 v5, v5, 9, v2
	v_cndmask_b32_e32 v5, v7, v5, vcc
	v_lshrrev_b32_e32 v7, 16, v12
	v_mul_f64 v[9:10], v[9:10], s[2:3]
	v_and_or_b32 v5, v7, s11, v5
	v_and_b32_e32 v1, 0xffff, v1
	v_lshl_or_b32 v1, v5, 16, v1
	v_mov_b32_e32 v5, s4
	v_add_co_u32_e32 v3, vcc, s5, v3
	v_addc_co_u32_e32 v4, vcc, v4, v5, vcc
	global_store_dword v[3:4], v1, off
	v_and_or_b32 v1, v10, s6, v9
	v_cmp_ne_u32_e32 vcc, 0, v1
	v_cndmask_b32_e64 v1, 0, 1, vcc
	v_lshrrev_b32_e32 v5, 8, v10
	v_bfe_u32 v7, v10, 20, 11
	v_and_or_b32 v1, v5, s7, v1
	v_sub_u32_e32 v9, 0x3f1, v7
	v_or_b32_e32 v5, 0x1000, v1
	v_med3_i32 v9, v9, 0, 13
	v_lshrrev_b32_e32 v12, v9, v5
	v_lshlrev_b32_e32 v9, v9, v12
	v_mul_f16_sdwa v6, v62, v6 dst_sel:DWORD dst_unused:UNUSED_PAD src0_sel:WORD_1 src1_sel:DWORD
	v_cmp_ne_u32_e32 vcc, v9, v5
	v_fma_f16 v6, v62, v11, -v6
	v_cndmask_b32_e64 v5, 0, 1, vcc
	v_add_u32_e32 v7, 0xfffffc10, v7
	v_cvt_f32_f16_e32 v6, v6
	v_or_b32_e32 v5, v12, v5
	v_lshl_or_b32 v9, v7, 12, v1
	v_cmp_gt_i32_e32 vcc, 1, v7
	v_cndmask_b32_e32 v5, v9, v5, vcc
	v_and_b32_e32 v9, 7, v5
	v_cmp_lt_i32_e32 vcc, 5, v9
	v_cmp_eq_u32_e64 s[0:1], 3, v9
	v_lshrrev_b32_e32 v9, 2, v5
	v_cvt_f64_f32_e32 v[5:6], v6
	s_or_b64 vcc, s[0:1], vcc
	v_addc_co_u32_e32 v9, vcc, 0, v9, vcc
	v_mul_f64 v[5:6], v[5:6], s[2:3]
	v_cmp_gt_i32_e32 vcc, 31, v7
	v_cndmask_b32_e32 v9, v2, v9, vcc
	v_cmp_ne_u32_e32 vcc, 0, v1
	v_cndmask_b32_e64 v1, 0, 1, vcc
	v_lshl_or_b32 v1, v1, 9, v2
	v_cmp_eq_u32_e32 vcc, s10, v7
	v_cndmask_b32_e32 v1, v9, v1, vcc
	v_and_or_b32 v5, v6, s6, v5
	v_lshrrev_b32_e32 v7, 16, v10
	v_cmp_ne_u32_e32 vcc, 0, v5
	v_and_or_b32 v1, v7, s11, v1
	v_cndmask_b32_e64 v5, 0, 1, vcc
	v_lshrrev_b32_e32 v7, 8, v6
	v_bfe_u32 v9, v6, 20, 11
	v_and_or_b32 v5, v7, s7, v5
	v_sub_u32_e32 v10, 0x3f1, v9
	v_or_b32_e32 v7, 0x1000, v5
	v_med3_i32 v10, v10, 0, 13
	v_lshrrev_b32_e32 v11, v10, v7
	v_lshlrev_b32_e32 v10, v10, v11
	v_cmp_ne_u32_e32 vcc, v10, v7
	v_cndmask_b32_e64 v7, 0, 1, vcc
	v_or_b32_e32 v7, v11, v7
	v_add_u32_e32 v11, 0xfffffc10, v9
	v_lshl_or_b32 v9, v11, 12, v5
	v_cmp_gt_i32_e32 vcc, 1, v11
	v_cndmask_b32_e32 v7, v9, v7, vcc
	v_and_b32_e32 v9, 7, v7
	v_cmp_lt_i32_e32 vcc, 5, v9
	v_cmp_eq_u32_e64 s[0:1], 3, v9
	ds_read2_b32 v[9:10], v66 offset0:56 offset1:191
	v_lshrrev_b32_e32 v7, 2, v7
	s_or_b64 vcc, s[0:1], vcc
	v_addc_co_u32_e32 v7, vcc, 0, v7, vcc
	s_waitcnt lgkmcnt(0)
	v_lshrrev_b32_e32 v13, 16, v9
	v_mul_f16_sdwa v12, v63, v13 dst_sel:DWORD dst_unused:UNUSED_PAD src0_sel:WORD_1 src1_sel:DWORD
	v_fma_f16 v12, v63, v9, v12
	v_cvt_f32_f16_e32 v12, v12
	v_cmp_gt_i32_e32 vcc, 31, v11
	v_cndmask_b32_e32 v7, v2, v7, vcc
	v_cmp_ne_u32_e32 vcc, 0, v5
	v_cndmask_b32_e64 v5, 0, 1, vcc
	v_cmp_eq_u32_e32 vcc, s10, v11
	v_cvt_f64_f32_e32 v[11:12], v12
	v_lshl_or_b32 v5, v5, 9, v2
	v_cndmask_b32_e32 v5, v7, v5, vcc
	v_lshrrev_b32_e32 v6, 16, v6
	v_and_or_b32 v7, v6, s11, v5
	v_mul_f64 v[5:6], v[11:12], s[2:3]
	v_and_b32_e32 v1, 0xffff, v1
	v_lshl_or_b32 v1, v7, 16, v1
	v_mov_b32_e32 v7, s9
	v_add_co_u32_e32 v3, vcc, s8, v3
	v_addc_co_u32_e32 v4, vcc, v4, v7, vcc
	global_store_dword v[3:4], v1, off
	v_and_or_b32 v1, v6, s6, v5
	v_cmp_ne_u32_e32 vcc, 0, v1
	v_cndmask_b32_e64 v1, 0, 1, vcc
	v_lshrrev_b32_e32 v5, 8, v6
	v_bfe_u32 v7, v6, 20, 11
	v_and_or_b32 v1, v5, s7, v1
	v_sub_u32_e32 v11, 0x3f1, v7
	v_or_b32_e32 v5, 0x1000, v1
	v_med3_i32 v11, v11, 0, 13
	v_lshrrev_b32_e32 v12, v11, v5
	v_lshlrev_b32_e32 v11, v11, v12
	v_mul_f16_sdwa v9, v63, v9 dst_sel:DWORD dst_unused:UNUSED_PAD src0_sel:WORD_1 src1_sel:DWORD
	v_cmp_ne_u32_e32 vcc, v11, v5
	v_fma_f16 v9, v63, v13, -v9
	v_cndmask_b32_e64 v5, 0, 1, vcc
	v_add_u32_e32 v7, 0xfffffc10, v7
	v_cvt_f32_f16_e32 v9, v9
	v_or_b32_e32 v5, v12, v5
	v_lshl_or_b32 v11, v7, 12, v1
	v_cmp_gt_i32_e32 vcc, 1, v7
	v_cndmask_b32_e32 v5, v11, v5, vcc
	v_and_b32_e32 v11, 7, v5
	v_cmp_lt_i32_e32 vcc, 5, v11
	v_cmp_eq_u32_e64 s[0:1], 3, v11
	v_cvt_f64_f32_e32 v[11:12], v9
	v_lshrrev_b32_e32 v5, 2, v5
	s_or_b64 vcc, s[0:1], vcc
	v_addc_co_u32_e32 v5, vcc, 0, v5, vcc
	v_mul_f64 v[11:12], v[11:12], s[2:3]
	v_cmp_gt_i32_e32 vcc, 31, v7
	v_cndmask_b32_e32 v5, v2, v5, vcc
	v_cmp_ne_u32_e32 vcc, 0, v1
	v_cndmask_b32_e64 v1, 0, 1, vcc
	v_lshl_or_b32 v1, v1, 9, v2
	v_cmp_eq_u32_e32 vcc, s10, v7
	v_cndmask_b32_e32 v1, v5, v1, vcc
	v_lshrrev_b32_e32 v5, 16, v6
	v_and_or_b32 v1, v5, s11, v1
	v_and_or_b32 v5, v12, s6, v11
	v_cmp_ne_u32_e32 vcc, 0, v5
	v_cndmask_b32_e64 v5, 0, 1, vcc
	v_lshrrev_b32_e32 v6, 8, v12
	v_bfe_u32 v7, v12, 20, 11
	v_and_or_b32 v5, v6, s7, v5
	v_sub_u32_e32 v9, 0x3f1, v7
	v_or_b32_e32 v6, 0x1000, v5
	v_med3_i32 v9, v9, 0, 13
	v_lshrrev_b32_e32 v11, v9, v6
	v_lshlrev_b32_e32 v9, v9, v11
	v_cmp_ne_u32_e32 vcc, v9, v6
	v_cndmask_b32_e64 v6, 0, 1, vcc
	v_add_u32_e32 v7, 0xfffffc10, v7
	v_or_b32_e32 v6, v11, v6
	v_lshl_or_b32 v9, v7, 12, v5
	v_cmp_gt_i32_e32 vcc, 1, v7
	v_cndmask_b32_e32 v6, v9, v6, vcc
	v_and_b32_e32 v9, 7, v6
	v_cmp_lt_i32_e32 vcc, 5, v9
	v_cmp_eq_u32_e64 s[0:1], 3, v9
	v_lshrrev_b32_e32 v9, 16, v8
	v_lshrrev_b32_e32 v6, 2, v6
	s_or_b64 vcc, s[0:1], vcc
	v_mul_f16_sdwa v11, v61, v9 dst_sel:DWORD dst_unused:UNUSED_PAD src0_sel:WORD_1 src1_sel:DWORD
	v_addc_co_u32_e32 v6, vcc, 0, v6, vcc
	v_fma_f16 v11, v61, v8, v11
	v_cmp_gt_i32_e32 vcc, 31, v7
	v_cvt_f32_f16_e32 v11, v11
	v_cndmask_b32_e32 v6, v2, v6, vcc
	v_cmp_ne_u32_e32 vcc, 0, v5
	v_cndmask_b32_e64 v5, 0, 1, vcc
	v_lshl_or_b32 v5, v5, 9, v2
	v_cmp_eq_u32_e32 vcc, s10, v7
	v_cndmask_b32_e32 v7, v6, v5, vcc
	v_cvt_f64_f32_e32 v[5:6], v11
	v_lshrrev_b32_e32 v11, 16, v12
	v_and_or_b32 v7, v11, s11, v7
	v_and_b32_e32 v1, 0xffff, v1
	v_mul_f64 v[5:6], v[5:6], s[2:3]
	v_lshl_or_b32 v1, v7, 16, v1
	v_mov_b32_e32 v7, s4
	v_add_co_u32_e32 v3, vcc, s5, v3
	v_addc_co_u32_e32 v4, vcc, v4, v7, vcc
	global_store_dword v[3:4], v1, off
	v_and_or_b32 v1, v6, s6, v5
	v_cmp_ne_u32_e32 vcc, 0, v1
	v_cndmask_b32_e64 v1, 0, 1, vcc
	v_lshrrev_b32_e32 v5, 8, v6
	v_bfe_u32 v7, v6, 20, 11
	v_and_or_b32 v1, v5, s7, v1
	v_sub_u32_e32 v11, 0x3f1, v7
	v_or_b32_e32 v5, 0x1000, v1
	v_med3_i32 v11, v11, 0, 13
	v_lshrrev_b32_e32 v12, v11, v5
	v_lshlrev_b32_e32 v11, v11, v12
	v_mul_f16_sdwa v8, v61, v8 dst_sel:DWORD dst_unused:UNUSED_PAD src0_sel:WORD_1 src1_sel:DWORD
	v_cmp_ne_u32_e32 vcc, v11, v5
	v_fma_f16 v8, v61, v9, -v8
	v_cndmask_b32_e64 v5, 0, 1, vcc
	v_add_u32_e32 v11, 0xfffffc10, v7
	v_cvt_f32_f16_e32 v8, v8
	v_or_b32_e32 v5, v12, v5
	v_lshl_or_b32 v7, v11, 12, v1
	v_cmp_gt_i32_e32 vcc, 1, v11
	v_cndmask_b32_e32 v5, v7, v5, vcc
	v_and_b32_e32 v7, 7, v5
	v_cmp_lt_i32_e32 vcc, 5, v7
	v_cmp_eq_u32_e64 s[0:1], 3, v7
	v_cvt_f64_f32_e32 v[7:8], v8
	v_lshrrev_b32_e32 v5, 2, v5
	s_or_b64 vcc, s[0:1], vcc
	v_addc_co_u32_e32 v5, vcc, 0, v5, vcc
	v_mul_f64 v[7:8], v[7:8], s[2:3]
	v_cmp_gt_i32_e32 vcc, 31, v11
	v_cndmask_b32_e32 v5, v2, v5, vcc
	v_cmp_ne_u32_e32 vcc, 0, v1
	v_cndmask_b32_e64 v1, 0, 1, vcc
	v_lshl_or_b32 v1, v1, 9, v2
	v_cmp_eq_u32_e32 vcc, s10, v11
	v_cndmask_b32_e32 v1, v5, v1, vcc
	v_lshrrev_b32_e32 v5, 16, v6
	v_and_or_b32 v1, v5, s11, v1
	v_and_or_b32 v5, v8, s6, v7
	v_cmp_ne_u32_e32 vcc, 0, v5
	v_cndmask_b32_e64 v5, 0, 1, vcc
	v_lshrrev_b32_e32 v6, 8, v8
	v_bfe_u32 v7, v8, 20, 11
	v_and_or_b32 v5, v6, s7, v5
	v_sub_u32_e32 v9, 0x3f1, v7
	v_or_b32_e32 v6, 0x1000, v5
	v_med3_i32 v9, v9, 0, 13
	v_lshrrev_b32_e32 v11, v9, v6
	v_lshlrev_b32_e32 v9, v9, v11
	v_cmp_ne_u32_e32 vcc, v9, v6
	v_cndmask_b32_e64 v6, 0, 1, vcc
	v_add_u32_e32 v7, 0xfffffc10, v7
	v_or_b32_e32 v6, v11, v6
	v_lshl_or_b32 v9, v7, 12, v5
	v_cmp_gt_i32_e32 vcc, 1, v7
	v_cndmask_b32_e32 v6, v9, v6, vcc
	v_and_b32_e32 v9, 7, v6
	v_cmp_lt_i32_e32 vcc, 5, v9
	v_cmp_eq_u32_e64 s[0:1], 3, v9
	v_lshrrev_b32_e32 v9, 16, v0
	v_lshrrev_b32_e32 v6, 2, v6
	s_or_b64 vcc, s[0:1], vcc
	v_mul_f16_sdwa v11, v60, v9 dst_sel:DWORD dst_unused:UNUSED_PAD src0_sel:WORD_1 src1_sel:DWORD
	v_addc_co_u32_e32 v6, vcc, 0, v6, vcc
	v_fma_f16 v11, v60, v0, v11
	v_cmp_gt_i32_e32 vcc, 31, v7
	v_cvt_f32_f16_e32 v11, v11
	v_cndmask_b32_e32 v6, v2, v6, vcc
	v_cmp_ne_u32_e32 vcc, 0, v5
	v_cndmask_b32_e64 v5, 0, 1, vcc
	v_lshl_or_b32 v5, v5, 9, v2
	v_cmp_eq_u32_e32 vcc, s10, v7
	v_cndmask_b32_e32 v7, v6, v5, vcc
	v_cvt_f64_f32_e32 v[5:6], v11
	v_lshrrev_b32_e32 v8, 16, v8
	v_and_or_b32 v7, v8, s11, v7
	v_and_b32_e32 v1, 0xffff, v1
	v_mul_f64 v[5:6], v[5:6], s[2:3]
	v_lshl_or_b32 v1, v7, 16, v1
	v_mov_b32_e32 v7, s4
	v_add_co_u32_e32 v3, vcc, s5, v3
	v_addc_co_u32_e32 v4, vcc, v4, v7, vcc
	global_store_dword v[3:4], v1, off
	v_and_or_b32 v1, v6, s6, v5
	v_cmp_ne_u32_e32 vcc, 0, v1
	v_cndmask_b32_e64 v1, 0, 1, vcc
	v_lshrrev_b32_e32 v5, 8, v6
	v_bfe_u32 v7, v6, 20, 11
	v_and_or_b32 v5, v5, s7, v1
	v_sub_u32_e32 v8, 0x3f1, v7
	v_or_b32_e32 v1, 0x1000, v5
	v_med3_i32 v8, v8, 0, 13
	v_lshrrev_b32_e32 v11, v8, v1
	v_lshlrev_b32_e32 v8, v8, v11
	v_mul_f16_sdwa v0, v60, v0 dst_sel:DWORD dst_unused:UNUSED_PAD src0_sel:WORD_1 src1_sel:DWORD
	v_cmp_ne_u32_e32 vcc, v8, v1
	v_fma_f16 v0, v60, v9, -v0
	v_cndmask_b32_e64 v1, 0, 1, vcc
	v_add_u32_e32 v7, 0xfffffc10, v7
	v_cvt_f32_f16_e32 v0, v0
	v_or_b32_e32 v1, v11, v1
	v_lshl_or_b32 v8, v7, 12, v5
	v_cmp_gt_i32_e32 vcc, 1, v7
	v_cndmask_b32_e32 v1, v8, v1, vcc
	v_and_b32_e32 v8, 7, v1
	v_cmp_lt_i32_e32 vcc, 5, v8
	v_cmp_eq_u32_e64 s[0:1], 3, v8
	v_lshrrev_b32_e32 v8, 2, v1
	v_cvt_f64_f32_e32 v[0:1], v0
	s_or_b64 vcc, s[0:1], vcc
	v_addc_co_u32_e32 v8, vcc, 0, v8, vcc
	v_mul_f64 v[0:1], v[0:1], s[2:3]
	v_cmp_gt_i32_e32 vcc, 31, v7
	v_cndmask_b32_e32 v8, v2, v8, vcc
	v_cmp_ne_u32_e32 vcc, 0, v5
	v_cndmask_b32_e64 v5, 0, 1, vcc
	v_lshl_or_b32 v5, v5, 9, v2
	v_cmp_eq_u32_e32 vcc, s10, v7
	v_cndmask_b32_e32 v5, v8, v5, vcc
	v_and_or_b32 v0, v1, s6, v0
	v_lshrrev_b32_e32 v6, 16, v6
	v_cmp_ne_u32_e32 vcc, 0, v0
	v_and_or_b32 v7, v6, s11, v5
	v_cndmask_b32_e64 v0, 0, 1, vcc
	v_lshrrev_b32_e32 v5, 8, v1
	v_bfe_u32 v6, v1, 20, 11
	v_and_or_b32 v0, v5, s7, v0
	v_sub_u32_e32 v8, 0x3f1, v6
	v_or_b32_e32 v5, 0x1000, v0
	v_med3_i32 v8, v8, 0, 13
	v_lshrrev_b32_e32 v9, v8, v5
	v_lshlrev_b32_e32 v8, v8, v9
	v_cmp_ne_u32_e32 vcc, v8, v5
	v_cndmask_b32_e64 v5, 0, 1, vcc
	v_add_u32_e32 v6, 0xfffffc10, v6
	v_or_b32_e32 v5, v9, v5
	v_lshl_or_b32 v8, v6, 12, v0
	v_cmp_gt_i32_e32 vcc, 1, v6
	v_cndmask_b32_e32 v5, v8, v5, vcc
	v_and_b32_e32 v8, 7, v5
	v_cmp_lt_i32_e32 vcc, 5, v8
	v_cmp_eq_u32_e64 s[0:1], 3, v8
	v_lshrrev_b32_e32 v8, 16, v10
	v_lshrrev_b32_e32 v5, 2, v5
	s_or_b64 vcc, s[0:1], vcc
	v_mul_f16_sdwa v9, v59, v8 dst_sel:DWORD dst_unused:UNUSED_PAD src0_sel:WORD_1 src1_sel:DWORD
	v_addc_co_u32_e32 v5, vcc, 0, v5, vcc
	v_fma_f16 v9, v59, v10, v9
	v_cmp_gt_i32_e32 vcc, 31, v6
	v_cvt_f32_f16_e32 v9, v9
	v_cndmask_b32_e32 v5, v2, v5, vcc
	v_cmp_ne_u32_e32 vcc, 0, v0
	v_cndmask_b32_e64 v0, 0, 1, vcc
	v_lshl_or_b32 v0, v0, 9, v2
	v_cmp_eq_u32_e32 vcc, s10, v6
	v_cndmask_b32_e32 v0, v5, v0, vcc
	v_cvt_f64_f32_e32 v[5:6], v9
	v_lshrrev_b32_e32 v1, 16, v1
	v_and_or_b32 v9, v1, s11, v0
	v_add_co_u32_e32 v3, vcc, s8, v3
	v_mul_f64 v[0:1], v[5:6], s[2:3]
	v_mov_b32_e32 v6, s9
	v_and_b32_e32 v7, 0xffff, v7
	v_addc_co_u32_e32 v4, vcc, v4, v6, vcc
	v_lshl_or_b32 v5, v9, 16, v7
	global_store_dword v[3:4], v5, off
	v_and_or_b32 v0, v1, s6, v0
	v_cmp_ne_u32_e32 vcc, 0, v0
	v_cndmask_b32_e64 v0, 0, 1, vcc
	v_lshrrev_b32_e32 v5, 8, v1
	v_bfe_u32 v6, v1, 20, 11
	v_and_or_b32 v0, v5, s7, v0
	v_sub_u32_e32 v7, 0x3f1, v6
	v_or_b32_e32 v5, 0x1000, v0
	v_med3_i32 v7, v7, 0, 13
	v_lshrrev_b32_e32 v9, v7, v5
	v_lshlrev_b32_e32 v7, v7, v9
	v_cmp_ne_u32_e32 vcc, v7, v5
	v_cndmask_b32_e64 v5, 0, 1, vcc
	v_or_b32_e32 v5, v9, v5
	v_mul_f16_sdwa v9, v59, v10 dst_sel:DWORD dst_unused:UNUSED_PAD src0_sel:WORD_1 src1_sel:DWORD
	v_fma_f16 v8, v59, v8, -v9
	v_add_u32_e32 v7, 0xfffffc10, v6
	v_cvt_f32_f16_e32 v8, v8
	v_lshl_or_b32 v6, v7, 12, v0
	v_cmp_gt_i32_e32 vcc, 1, v7
	v_cndmask_b32_e32 v5, v6, v5, vcc
	v_and_b32_e32 v6, 7, v5
	v_cmp_lt_i32_e32 vcc, 5, v6
	v_cmp_eq_u32_e64 s[0:1], 3, v6
	v_lshrrev_b32_e32 v9, 2, v5
	v_cvt_f64_f32_e32 v[5:6], v8
	s_or_b64 vcc, s[0:1], vcc
	v_addc_co_u32_e32 v8, vcc, 0, v9, vcc
	v_mul_f64 v[5:6], v[5:6], s[2:3]
	v_cmp_gt_i32_e32 vcc, 31, v7
	v_cndmask_b32_e32 v8, v2, v8, vcc
	v_cmp_ne_u32_e32 vcc, 0, v0
	v_cndmask_b32_e64 v0, 0, 1, vcc
	v_lshl_or_b32 v0, v0, 9, v2
	v_cmp_eq_u32_e32 vcc, s10, v7
	v_cndmask_b32_e32 v0, v8, v0, vcc
	v_lshrrev_b32_e32 v1, 16, v1
	v_and_or_b32 v7, v1, s11, v0
	v_and_or_b32 v0, v6, s6, v5
	v_cmp_ne_u32_e32 vcc, 0, v0
	v_cndmask_b32_e64 v0, 0, 1, vcc
	v_lshrrev_b32_e32 v1, 8, v6
	v_bfe_u32 v5, v6, 20, 11
	v_and_or_b32 v0, v1, s7, v0
	v_sub_u32_e32 v8, 0x3f1, v5
	v_or_b32_e32 v1, 0x1000, v0
	v_med3_i32 v8, v8, 0, 13
	v_lshrrev_b32_e32 v9, v8, v1
	v_lshlrev_b32_e32 v8, v8, v9
	v_cmp_ne_u32_e32 vcc, v8, v1
	v_cndmask_b32_e64 v1, 0, 1, vcc
	v_add_u32_e32 v5, 0xfffffc10, v5
	v_or_b32_e32 v1, v9, v1
	v_lshl_or_b32 v8, v5, 12, v0
	v_cmp_gt_i32_e32 vcc, 1, v5
	v_cndmask_b32_e32 v1, v8, v1, vcc
	v_and_b32_e32 v8, 7, v1
	v_cmp_lt_i32_e32 vcc, 5, v8
	v_cmp_eq_u32_e64 s[0:1], 3, v8
	ds_read_b32 v8, v57 offset:7560
	v_lshrrev_b32_e32 v1, 2, v1
	s_or_b64 vcc, s[0:1], vcc
	v_addc_co_u32_e32 v1, vcc, 0, v1, vcc
	s_waitcnt lgkmcnt(0)
	v_lshrrev_b32_e32 v9, 16, v8
	v_mul_f16_sdwa v10, v58, v9 dst_sel:DWORD dst_unused:UNUSED_PAD src0_sel:WORD_1 src1_sel:DWORD
	v_fma_f16 v10, v58, v8, v10
	v_cmp_gt_i32_e32 vcc, 31, v5
	v_cvt_f32_f16_e32 v10, v10
	v_cndmask_b32_e32 v1, v2, v1, vcc
	v_cmp_ne_u32_e32 vcc, 0, v0
	v_cndmask_b32_e64 v0, 0, 1, vcc
	v_lshl_or_b32 v0, v0, 9, v2
	v_cmp_eq_u32_e32 vcc, s10, v5
	v_cndmask_b32_e32 v5, v1, v0, vcc
	v_cvt_f64_f32_e32 v[0:1], v10
	v_lshrrev_b32_e32 v6, 16, v6
	v_and_or_b32 v5, v6, s11, v5
	v_and_b32_e32 v6, 0xffff, v7
	v_mul_f64 v[0:1], v[0:1], s[2:3]
	v_lshl_or_b32 v5, v5, 16, v6
	v_mov_b32_e32 v6, s4
	v_add_co_u32_e32 v3, vcc, s5, v3
	v_addc_co_u32_e32 v4, vcc, v4, v6, vcc
	global_store_dword v[3:4], v5, off
	v_and_or_b32 v0, v1, s6, v0
	v_cmp_ne_u32_e32 vcc, 0, v0
	v_cndmask_b32_e64 v0, 0, 1, vcc
	v_lshrrev_b32_e32 v5, 8, v1
	v_bfe_u32 v6, v1, 20, 11
	v_and_or_b32 v0, v5, s7, v0
	v_sub_u32_e32 v7, 0x3f1, v6
	v_or_b32_e32 v5, 0x1000, v0
	v_med3_i32 v7, v7, 0, 13
	v_lshrrev_b32_e32 v10, v7, v5
	v_lshlrev_b32_e32 v7, v7, v10
	v_mul_f16_sdwa v8, v58, v8 dst_sel:DWORD dst_unused:UNUSED_PAD src0_sel:WORD_1 src1_sel:DWORD
	v_cmp_ne_u32_e32 vcc, v7, v5
	v_fma_f16 v8, v58, v9, -v8
	v_cndmask_b32_e64 v5, 0, 1, vcc
	v_add_u32_e32 v7, 0xfffffc10, v6
	v_cvt_f32_f16_e32 v8, v8
	v_or_b32_e32 v5, v10, v5
	v_lshl_or_b32 v6, v7, 12, v0
	v_cmp_gt_i32_e32 vcc, 1, v7
	v_cndmask_b32_e32 v5, v6, v5, vcc
	v_and_b32_e32 v6, 7, v5
	v_cmp_lt_i32_e32 vcc, 5, v6
	v_cmp_eq_u32_e64 s[0:1], 3, v6
	v_lshrrev_b32_e32 v9, 2, v5
	v_cvt_f64_f32_e32 v[5:6], v8
	s_or_b64 vcc, s[0:1], vcc
	v_addc_co_u32_e32 v8, vcc, 0, v9, vcc
	v_mul_f64 v[5:6], v[5:6], s[2:3]
	v_cmp_gt_i32_e32 vcc, 31, v7
	v_cndmask_b32_e32 v8, v2, v8, vcc
	v_cmp_ne_u32_e32 vcc, 0, v0
	v_cndmask_b32_e64 v0, 0, 1, vcc
	v_lshl_or_b32 v0, v0, 9, v2
	v_cmp_eq_u32_e32 vcc, s10, v7
	v_cndmask_b32_e32 v0, v8, v0, vcc
	v_lshrrev_b32_e32 v1, 16, v1
	v_and_or_b32 v0, v1, s11, v0
	v_and_or_b32 v1, v6, s6, v5
	v_cmp_ne_u32_e32 vcc, 0, v1
	v_cndmask_b32_e64 v1, 0, 1, vcc
	v_lshrrev_b32_e32 v5, 8, v6
	v_bfe_u32 v7, v6, 20, 11
	v_and_or_b32 v1, v5, s7, v1
	v_sub_u32_e32 v8, 0x3f1, v7
	v_or_b32_e32 v5, 0x1000, v1
	v_med3_i32 v8, v8, 0, 13
	v_lshrrev_b32_e32 v9, v8, v5
	v_lshlrev_b32_e32 v8, v8, v9
	v_cmp_ne_u32_e32 vcc, v8, v5
	v_cndmask_b32_e64 v5, 0, 1, vcc
	v_add_u32_e32 v7, 0xfffffc10, v7
	v_or_b32_e32 v5, v9, v5
	v_lshl_or_b32 v8, v7, 12, v1
	v_cmp_gt_i32_e32 vcc, 1, v7
	v_cndmask_b32_e32 v5, v8, v5, vcc
	v_and_b32_e32 v8, 7, v5
	v_cmp_lt_i32_e32 vcc, 5, v8
	v_cmp_eq_u32_e64 s[0:1], 3, v8
	v_lshrrev_b32_e32 v5, 2, v5
	s_or_b64 vcc, s[0:1], vcc
	v_addc_co_u32_e32 v5, vcc, 0, v5, vcc
	v_cmp_gt_i32_e32 vcc, 31, v7
	v_cndmask_b32_e32 v5, v2, v5, vcc
	v_cmp_ne_u32_e32 vcc, 0, v1
	v_cndmask_b32_e64 v1, 0, 1, vcc
	v_lshl_or_b32 v1, v1, 9, v2
	v_cmp_eq_u32_e32 vcc, s10, v7
	v_cndmask_b32_e32 v1, v5, v1, vcc
	v_lshrrev_b32_e32 v2, 16, v6
	v_and_or_b32 v1, v2, s11, v1
	v_and_b32_e32 v0, 0xffff, v0
	v_lshl_or_b32 v2, v1, 16, v0
	v_mov_b32_e32 v1, s4
	v_add_co_u32_e32 v0, vcc, s5, v3
	v_addc_co_u32_e32 v1, vcc, v4, v1, vcc
	global_store_dword v[0:1], v2, off
.LBB0_2:
	s_endpgm
	.section	.rodata,"a",@progbits
	.p2align	6, 0x0
	.amdhsa_kernel bluestein_single_back_len2025_dim1_half_op_CI_CI
		.amdhsa_group_segment_fixed_size 8100
		.amdhsa_private_segment_fixed_size 0
		.amdhsa_kernarg_size 104
		.amdhsa_user_sgpr_count 6
		.amdhsa_user_sgpr_private_segment_buffer 1
		.amdhsa_user_sgpr_dispatch_ptr 0
		.amdhsa_user_sgpr_queue_ptr 0
		.amdhsa_user_sgpr_kernarg_segment_ptr 1
		.amdhsa_user_sgpr_dispatch_id 0
		.amdhsa_user_sgpr_flat_scratch_init 0
		.amdhsa_user_sgpr_private_segment_size 0
		.amdhsa_uses_dynamic_stack 0
		.amdhsa_system_sgpr_private_segment_wavefront_offset 0
		.amdhsa_system_sgpr_workgroup_id_x 1
		.amdhsa_system_sgpr_workgroup_id_y 0
		.amdhsa_system_sgpr_workgroup_id_z 0
		.amdhsa_system_sgpr_workgroup_info 0
		.amdhsa_system_vgpr_workitem_id 0
		.amdhsa_next_free_vgpr 127
		.amdhsa_next_free_sgpr 20
		.amdhsa_reserve_vcc 1
		.amdhsa_reserve_flat_scratch 0
		.amdhsa_float_round_mode_32 0
		.amdhsa_float_round_mode_16_64 0
		.amdhsa_float_denorm_mode_32 3
		.amdhsa_float_denorm_mode_16_64 3
		.amdhsa_dx10_clamp 1
		.amdhsa_ieee_mode 1
		.amdhsa_fp16_overflow 0
		.amdhsa_exception_fp_ieee_invalid_op 0
		.amdhsa_exception_fp_denorm_src 0
		.amdhsa_exception_fp_ieee_div_zero 0
		.amdhsa_exception_fp_ieee_overflow 0
		.amdhsa_exception_fp_ieee_underflow 0
		.amdhsa_exception_fp_ieee_inexact 0
		.amdhsa_exception_int_div_zero 0
	.end_amdhsa_kernel
	.text
.Lfunc_end0:
	.size	bluestein_single_back_len2025_dim1_half_op_CI_CI, .Lfunc_end0-bluestein_single_back_len2025_dim1_half_op_CI_CI
                                        ; -- End function
	.section	.AMDGPU.csdata,"",@progbits
; Kernel info:
; codeLenInByte = 25736
; NumSgprs: 24
; NumVgprs: 127
; ScratchSize: 0
; MemoryBound: 0
; FloatMode: 240
; IeeeMode: 1
; LDSByteSize: 8100 bytes/workgroup (compile time only)
; SGPRBlocks: 2
; VGPRBlocks: 31
; NumSGPRsForWavesPerEU: 24
; NumVGPRsForWavesPerEU: 127
; Occupancy: 2
; WaveLimiterHint : 1
; COMPUTE_PGM_RSRC2:SCRATCH_EN: 0
; COMPUTE_PGM_RSRC2:USER_SGPR: 6
; COMPUTE_PGM_RSRC2:TRAP_HANDLER: 0
; COMPUTE_PGM_RSRC2:TGID_X_EN: 1
; COMPUTE_PGM_RSRC2:TGID_Y_EN: 0
; COMPUTE_PGM_RSRC2:TGID_Z_EN: 0
; COMPUTE_PGM_RSRC2:TIDIG_COMP_CNT: 0
	.type	__hip_cuid_eba2f0ed1de4b00d,@object ; @__hip_cuid_eba2f0ed1de4b00d
	.section	.bss,"aw",@nobits
	.globl	__hip_cuid_eba2f0ed1de4b00d
__hip_cuid_eba2f0ed1de4b00d:
	.byte	0                               ; 0x0
	.size	__hip_cuid_eba2f0ed1de4b00d, 1

	.ident	"AMD clang version 19.0.0git (https://github.com/RadeonOpenCompute/llvm-project roc-6.4.0 25133 c7fe45cf4b819c5991fe208aaa96edf142730f1d)"
	.section	".note.GNU-stack","",@progbits
	.addrsig
	.addrsig_sym __hip_cuid_eba2f0ed1de4b00d
	.amdgpu_metadata
---
amdhsa.kernels:
  - .args:
      - .actual_access:  read_only
        .address_space:  global
        .offset:         0
        .size:           8
        .value_kind:     global_buffer
      - .actual_access:  read_only
        .address_space:  global
        .offset:         8
        .size:           8
        .value_kind:     global_buffer
      - .actual_access:  read_only
        .address_space:  global
        .offset:         16
        .size:           8
        .value_kind:     global_buffer
      - .actual_access:  read_only
        .address_space:  global
        .offset:         24
        .size:           8
        .value_kind:     global_buffer
      - .actual_access:  read_only
        .address_space:  global
        .offset:         32
        .size:           8
        .value_kind:     global_buffer
      - .offset:         40
        .size:           8
        .value_kind:     by_value
      - .address_space:  global
        .offset:         48
        .size:           8
        .value_kind:     global_buffer
      - .address_space:  global
        .offset:         56
        .size:           8
        .value_kind:     global_buffer
      - .address_space:  global
        .offset:         64
        .size:           8
        .value_kind:     global_buffer
      - .address_space:  global
        .offset:         72
        .size:           8
        .value_kind:     global_buffer
      - .offset:         80
        .size:           4
        .value_kind:     by_value
      - .address_space:  global
        .offset:         88
        .size:           8
        .value_kind:     global_buffer
      - .address_space:  global
        .offset:         96
        .size:           8
        .value_kind:     global_buffer
    .group_segment_fixed_size: 8100
    .kernarg_segment_align: 8
    .kernarg_segment_size: 104
    .language:       OpenCL C
    .language_version:
      - 2
      - 0
    .max_flat_workgroup_size: 135
    .name:           bluestein_single_back_len2025_dim1_half_op_CI_CI
    .private_segment_fixed_size: 0
    .sgpr_count:     24
    .sgpr_spill_count: 0
    .symbol:         bluestein_single_back_len2025_dim1_half_op_CI_CI.kd
    .uniform_work_group_size: 1
    .uses_dynamic_stack: false
    .vgpr_count:     127
    .vgpr_spill_count: 0
    .wavefront_size: 64
amdhsa.target:   amdgcn-amd-amdhsa--gfx906
amdhsa.version:
  - 1
  - 2
...

	.end_amdgpu_metadata
